;; amdgpu-corpus repo=pytorch/pytorch kind=compiled arch=gfx1250 opt=O3
	.amdgcn_target "amdgcn-amd-amdhsa--gfx1250"
	.amdhsa_code_object_version 6
	.section	.text._ZN2at6native30max_unpooling2d_forward_kernelIhEEvlPKT_PKllllllPS2_,"axG",@progbits,_ZN2at6native30max_unpooling2d_forward_kernelIhEEvlPKT_PKllllllPS2_,comdat
	.protected	_ZN2at6native30max_unpooling2d_forward_kernelIhEEvlPKT_PKllllllPS2_ ; -- Begin function _ZN2at6native30max_unpooling2d_forward_kernelIhEEvlPKT_PKllllllPS2_
	.globl	_ZN2at6native30max_unpooling2d_forward_kernelIhEEvlPKT_PKllllllPS2_
	.p2align	8
	.type	_ZN2at6native30max_unpooling2d_forward_kernelIhEEvlPKT_PKllllllPS2_,@function
_ZN2at6native30max_unpooling2d_forward_kernelIhEEvlPKT_PKllllllPS2_: ; @_ZN2at6native30max_unpooling2d_forward_kernelIhEEvlPKT_PKllllllPS2_
; %bb.0:
	s_load_b32 s2, s[0:1], 0x54
	s_bfe_u32 s4, ttmp6, 0x4000c
	v_mov_b32_e32 v2, 0
	s_add_co_i32 s21, s4, 1
	s_load_b512 s[4:19], s[0:1], 0x0
	s_and_b32 s3, ttmp6, 15
	s_mul_i32 s21, ttmp9, s21
	s_getreg_b32 s20, hwreg(HW_REG_IB_STS2, 6, 4)
	v_mov_b32_e32 v1, v2
	s_add_co_i32 s3, s3, s21
	s_wait_kmcnt 0x0
	s_and_b32 s2, s2, 0xffff
	s_cmp_eq_u32 s20, 0
	s_mov_b32 s20, exec_lo
	s_cselect_b32 s3, ttmp9, s3
	s_delay_alu instid0(SALU_CYCLE_1) | instskip(SKIP_1) | instid1(VALU_DEP_1)
	v_mad_nc_u64_u32 v[0:1], s2, s3, v[0:1]
	s_mov_b32 s3, 0
	v_cmpx_gt_i64_e64 s[4:5], v[0:1]
	s_cbranch_execz .LBB0_18
; %bb.1:
	v_cvt_f32_u32_e32 v3, s14
	s_sub_co_i32 s22, 0, s14
	s_add_nc_u64 s[20:21], s[0:1], 0x48
	s_load_b64 s[0:1], s[0:1], 0x40
	s_mul_u64 s[16:17], s[18:19], s[16:17]
	v_rcp_iflag_f32_e32 v3, v3
	s_load_b32 s21, s[20:21], 0x0
	s_mov_b32 s19, s3
	s_wait_xcnt 0x0
	s_mov_b32 s20, s3
	s_ashr_i32 s24, s15, 31
	s_ashr_i32 s26, s13, 31
                                        ; implicit-def: $sgpr33
                                        ; implicit-def: $sgpr35
                                        ; implicit-def: $sgpr34
	v_nop
	v_mul_f32_e32 v3, 0x4f7ffffe, v3
	s_delay_alu instid0(VALU_DEP_1) | instskip(NEXT) | instid1(VALU_DEP_1)
	v_cvt_u32_f32_e32 v6, v3
	v_mul_lo_u32 v3, s22, v6
	s_wait_kmcnt 0x0
	v_mov_b64_e32 v[4:5], s[0:1]
	s_mov_b64 s[22:23], 0xffffffff
	s_mov_b32 s1, 0
	s_mul_i32 s18, s21, s2
	s_delay_alu instid0(SALU_CYCLE_1) | instskip(NEXT) | instid1(VALU_DEP_2)
	s_mov_b32 s21, s18
	v_mul_hi_u32 v7, v6, v3
	s_delay_alu instid0(VALU_DEP_1) | instskip(NEXT) | instid1(VALU_DEP_1)
	v_dual_mov_b32 v3, v0 :: v_dual_add_nc_u32 v16, v6, v7
	v_mov_b64_e32 v[6:7], v[2:3]
.LBB0_2:                                ; =>This Inner Loop Header: Depth=1
	s_delay_alu instid0(VALU_DEP_1) | instskip(SKIP_2) | instid1(VALU_DEP_1)
	v_ashrrev_i64 v[8:9], 29, v[6:7]
	s_or_b32 s34, s34, exec_lo
	s_or_b32 s35, s35, exec_lo
	v_add_nc_u64_e32 v[8:9], s[8:9], v[8:9]
	global_load_b64 v[8:9], v[8:9], off
	s_wait_loadcnt 0x0
	s_wait_xcnt 0x0
	v_ashrrev_i32_e32 v9, 31, v8
	v_cmp_lt_i32_e64 s0, -1, v8
	s_delay_alu instid0(VALU_DEP_2) | instskip(SKIP_1) | instid1(SALU_CYCLE_1)
	v_cmp_gt_i64_e32 vcc_lo, s[16:17], v[8:9]
	s_and_b32 s0, s0, vcc_lo
	s_and_saveexec_b32 s36, s0
	s_cbranch_execz .LBB0_16
; %bb.3:                                ;   in Loop: Header=BB0_2 Depth=1
	v_dual_mov_b32 v10, v7 :: v_dual_ashrrev_i32 v11, 31, v7
                                        ; implicit-def: $vgpr14_vgpr15
	s_mov_b32 s0, exec_lo
	s_delay_alu instid0(VALU_DEP_1) | instskip(NEXT) | instid1(VALU_DEP_1)
	v_or_b32_e32 v3, s15, v11
	v_cmpx_ne_u64_e32 0, v[2:3]
	s_xor_b32 s27, exec_lo, s0
	s_cbranch_execz .LBB0_5
; %bb.4:                                ;   in Loop: Header=BB0_2 Depth=1
	s_mov_b32 s25, s24
	v_dual_mov_b32 v19, v2 :: v_dual_ashrrev_i32 v12, 31, v11
	s_add_nc_u64 s[28:29], s[14:15], s[24:25]
	v_mov_b32_e32 v27, v2
	s_xor_b64 s[28:29], s[28:29], s[24:25]
	s_delay_alu instid0(VALU_DEP_2) | instskip(SKIP_3) | instid1(VALU_DEP_1)
	v_mov_b32_e32 v13, v12
	s_cvt_f32_u32 s0, s28
	s_cvt_f32_u32 s2, s29
	s_sub_nc_u64 s[38:39], 0, s[28:29]
	v_add_nc_u64_e32 v[14:15], v[10:11], v[12:13]
	s_delay_alu instid0(SALU_CYCLE_1) | instskip(SKIP_1) | instid1(SALU_CYCLE_2)
	s_fmamk_f32 s0, s2, 0x4f800000, s0
	v_mov_b32_e32 v23, v2
	v_s_rcp_f32 s0, s0
	s_delay_alu instid0(VALU_DEP_2) | instskip(NEXT) | instid1(VALU_DEP_3)
	v_xor_b32_e32 v18, v14, v12
	v_xor_b32_e32 v22, v15, v12
	;; [unrolled: 1-line block ×3, first 2 shown]
	s_delay_alu instid0(TRANS32_DEP_1) | instskip(NEXT) | instid1(SALU_CYCLE_3)
	s_mul_f32 s0, s0, 0x5f7ffffc
	s_mul_f32 s2, s0, 0x2f800000
	s_delay_alu instid0(SALU_CYCLE_3) | instskip(NEXT) | instid1(SALU_CYCLE_3)
	s_trunc_f32 s2, s2
	s_fmamk_f32 s0, s2, 0xcf800000, s0
	s_cvt_u32_f32 s31, s2
	s_delay_alu instid0(SALU_CYCLE_2) | instskip(NEXT) | instid1(SALU_CYCLE_3)
	s_cvt_u32_f32 s30, s0
	s_mul_u64 s[40:41], s[38:39], s[30:31]
	s_delay_alu instid0(SALU_CYCLE_1)
	s_mul_hi_u32 s43, s30, s41
	s_mul_i32 s42, s30, s41
	s_mul_hi_u32 s2, s30, s40
	s_mul_i32 s25, s31, s40
	s_add_nc_u64 s[42:43], s[2:3], s[42:43]
	s_mul_hi_u32 s0, s31, s40
	s_mul_hi_u32 s37, s31, s41
	s_add_co_u32 s2, s42, s25
	s_add_co_ci_u32 s2, s43, s0
	s_mul_i32 s40, s31, s41
	s_add_co_ci_u32 s41, s37, 0
	s_delay_alu instid0(SALU_CYCLE_1) | instskip(NEXT) | instid1(SALU_CYCLE_1)
	s_add_nc_u64 s[40:41], s[2:3], s[40:41]
	s_add_co_u32 s30, s30, s40
	s_cselect_b32 s0, -1, 0
	s_delay_alu instid0(SALU_CYCLE_1) | instskip(SKIP_1) | instid1(SALU_CYCLE_1)
	s_cmp_lg_u32 s0, 0
	s_add_co_ci_u32 s31, s31, s41
	s_mul_u64 s[38:39], s[38:39], s[30:31]
	s_delay_alu instid0(SALU_CYCLE_1)
	s_mul_hi_u32 s41, s30, s39
	s_mul_i32 s40, s30, s39
	s_mul_hi_u32 s2, s30, s38
	s_mul_i32 s25, s31, s38
	s_add_nc_u64 s[40:41], s[2:3], s[40:41]
	s_mul_hi_u32 s0, s31, s38
	s_mul_hi_u32 s37, s31, s39
	s_add_co_u32 s2, s40, s25
	s_add_co_ci_u32 s2, s41, s0
	s_mul_i32 s38, s31, s39
	s_add_co_ci_u32 s39, s37, 0
	s_delay_alu instid0(SALU_CYCLE_1) | instskip(NEXT) | instid1(SALU_CYCLE_1)
	s_add_nc_u64 s[38:39], s[2:3], s[38:39]
	s_add_co_u32 s0, s30, s38
	s_cselect_b32 s2, -1, 0
	v_mul_hi_u32 v26, v18, s0
	s_cmp_lg_u32 s2, 0
	s_add_co_ci_u32 s2, s31, s39
	s_and_b64 s[30:31], s[0:1], s[22:23]
	v_mul_u64_e32 v[20:21], s[2:3], v[18:19]
	v_mul_u64_e32 v[14:15], s[30:31], v[22:23]
	;; [unrolled: 1-line block ×3, first 2 shown]
	s_delay_alu instid0(VALU_DEP_3) | instskip(NEXT) | instid1(VALU_DEP_1)
	v_add_nc_u64_e32 v[20:21], v[26:27], v[20:21]
	v_add_co_u32 v3, vcc_lo, v20, v14
	s_delay_alu instid0(VALU_DEP_2) | instskip(NEXT) | instid1(VALU_DEP_4)
	v_add_co_ci_u32_e32 v26, vcc_lo, v21, v15, vcc_lo
	v_add_co_ci_u32_e32 v25, vcc_lo, 0, v25, vcc_lo
	s_delay_alu instid0(VALU_DEP_1) | instskip(NEXT) | instid1(VALU_DEP_1)
	v_add_nc_u64_e32 v[14:15], v[26:27], v[24:25]
	v_mul_u64_e32 v[20:21], s[28:29], v[14:15]
	s_delay_alu instid0(VALU_DEP_1) | instskip(NEXT) | instid1(VALU_DEP_2)
	v_sub_nc_u32_e32 v3, v22, v21
	v_sub_co_u32 v13, vcc_lo, v18, v20
	s_delay_alu instid0(VALU_DEP_1) | instskip(NEXT) | instid1(VALU_DEP_3)
	v_sub_co_ci_u32_e64 v22, null, v22, v21, vcc_lo
	v_subrev_co_ci_u32_e64 v3, null, s29, v3, vcc_lo
	s_delay_alu instid0(VALU_DEP_3) | instskip(SKIP_1) | instid1(VALU_DEP_3)
	v_sub_co_u32 v17, s0, v13, s28
	v_add_nc_u64_e32 v[20:21], 1, v[14:15]
	v_subrev_co_ci_u32_e64 v3, null, 0, v3, s0
	s_delay_alu instid0(VALU_DEP_3) | instskip(SKIP_1) | instid1(VALU_DEP_3)
	v_cmp_le_u32_e32 vcc_lo, s28, v17
	v_cndmask_b32_e64 v17, 0, -1, vcc_lo
	v_cmp_le_u32_e32 vcc_lo, s29, v3
	v_cndmask_b32_e64 v18, 0, -1, vcc_lo
	;; [unrolled: 2-line block ×4, first 2 shown]
	v_cmp_eq_u32_e32 vcc_lo, s29, v3
	v_cndmask_b32_e32 v3, v18, v17, vcc_lo
	v_cmp_eq_u32_e32 vcc_lo, s29, v22
	v_add_nc_u64_e32 v[18:19], 2, v[14:15]
	v_cndmask_b32_e32 v13, v23, v13, vcc_lo
	s_delay_alu instid0(VALU_DEP_4) | instskip(NEXT) | instid1(VALU_DEP_2)
	v_cmp_ne_u32_e32 vcc_lo, 0, v3
	v_cmp_ne_u32_e64 s0, 0, v13
	s_delay_alu instid0(VALU_DEP_4) | instskip(NEXT) | instid1(VALU_DEP_1)
	v_dual_cndmask_b32 v13, v20, v18, vcc_lo :: v_dual_cndmask_b32 v3, v21, v19, vcc_lo
	v_dual_cndmask_b32 v14, v14, v13, s0 :: v_dual_cndmask_b32 v3, v15, v3, s0
	s_delay_alu instid0(VALU_DEP_1) | instskip(NEXT) | instid1(VALU_DEP_2)
	v_dual_mov_b32 v13, v12 :: v_dual_bitop2_b32 v14, v14, v12 bitop3:0x14
	v_xor_b32_e32 v15, v3, v12
	s_delay_alu instid0(VALU_DEP_1)
	v_sub_nc_u64_e32 v[14:15], v[14:15], v[12:13]
.LBB0_5:                                ;   in Loop: Header=BB0_2 Depth=1
	s_and_not1_saveexec_b32 s0, s27
	s_cbranch_execz .LBB0_7
; %bb.6:                                ;   in Loop: Header=BB0_2 Depth=1
	v_mul_hi_u32 v3, v7, v16
	v_mov_b32_e32 v15, v2
	s_delay_alu instid0(VALU_DEP_2) | instskip(NEXT) | instid1(VALU_DEP_1)
	v_mul_lo_u32 v12, v3, s14
	v_dual_add_nc_u32 v13, 1, v3 :: v_dual_sub_nc_u32 v12, v7, v12
	s_delay_alu instid0(VALU_DEP_1) | instskip(SKIP_1) | instid1(VALU_DEP_2)
	v_subrev_nc_u32_e32 v14, s14, v12
	v_cmp_le_u32_e32 vcc_lo, s14, v12
	v_dual_cndmask_b32 v12, v12, v14 :: v_dual_cndmask_b32 v3, v3, v13
	s_delay_alu instid0(VALU_DEP_1) | instskip(NEXT) | instid1(VALU_DEP_2)
	v_cmp_le_u32_e32 vcc_lo, s14, v12
	v_add_nc_u32_e32 v13, 1, v3
	s_delay_alu instid0(VALU_DEP_1)
	v_cndmask_b32_e32 v14, v3, v13, vcc_lo
.LBB0_7:                                ;   in Loop: Header=BB0_2 Depth=1
	s_or_b32 exec_lo, exec_lo, s0
	s_delay_alu instid0(VALU_DEP_1) | instskip(SKIP_1) | instid1(VALU_DEP_1)
	v_or_b32_e32 v3, s13, v15
                                        ; implicit-def: $vgpr12_vgpr13
	s_mov_b32 s0, exec_lo
	v_cmpx_ne_u64_e32 0, v[2:3]
	s_xor_b32 s25, exec_lo, s0
	s_cbranch_execz .LBB0_9
; %bb.8:                                ;   in Loop: Header=BB0_2 Depth=1
	s_mov_b32 s27, s26
	v_dual_mov_b32 v19, v2 :: v_dual_ashrrev_i32 v12, 31, v15
	s_add_nc_u64 s[28:29], s[12:13], s[26:27]
	v_mov_b32_e32 v27, v2
	s_xor_b64 s[28:29], s[28:29], s[26:27]
	s_delay_alu instid0(VALU_DEP_2) | instskip(SKIP_3) | instid1(VALU_DEP_1)
	v_mov_b32_e32 v13, v12
	s_cvt_f32_u32 s0, s28
	s_cvt_f32_u32 s2, s29
	s_sub_nc_u64 s[38:39], 0, s[28:29]
	v_add_nc_u64_e32 v[14:15], v[14:15], v[12:13]
	s_delay_alu instid0(SALU_CYCLE_1) | instskip(SKIP_1) | instid1(SALU_CYCLE_2)
	s_fmamk_f32 s0, s2, 0x4f800000, s0
	v_mov_b32_e32 v23, v2
	v_s_rcp_f32 s0, s0
	s_delay_alu instid0(VALU_DEP_2) | instskip(NEXT) | instid1(VALU_DEP_3)
	v_xor_b32_e32 v18, v14, v12
	v_xor_b32_e32 v22, v15, v12
	;; [unrolled: 1-line block ×3, first 2 shown]
	s_delay_alu instid0(TRANS32_DEP_1) | instskip(NEXT) | instid1(SALU_CYCLE_3)
	s_mul_f32 s0, s0, 0x5f7ffffc
	s_mul_f32 s2, s0, 0x2f800000
	s_delay_alu instid0(SALU_CYCLE_3) | instskip(NEXT) | instid1(SALU_CYCLE_3)
	s_trunc_f32 s2, s2
	s_fmamk_f32 s0, s2, 0xcf800000, s0
	s_cvt_u32_f32 s31, s2
	s_delay_alu instid0(SALU_CYCLE_2) | instskip(NEXT) | instid1(SALU_CYCLE_3)
	s_cvt_u32_f32 s30, s0
	s_mul_u64 s[40:41], s[38:39], s[30:31]
	s_delay_alu instid0(SALU_CYCLE_1)
	s_mul_hi_u32 s43, s30, s41
	s_mul_i32 s42, s30, s41
	s_mul_hi_u32 s2, s30, s40
	s_mul_i32 s27, s31, s40
	s_add_nc_u64 s[42:43], s[2:3], s[42:43]
	s_mul_hi_u32 s0, s31, s40
	s_mul_hi_u32 s37, s31, s41
	s_add_co_u32 s2, s42, s27
	s_add_co_ci_u32 s2, s43, s0
	s_mul_i32 s40, s31, s41
	s_add_co_ci_u32 s41, s37, 0
	s_delay_alu instid0(SALU_CYCLE_1) | instskip(NEXT) | instid1(SALU_CYCLE_1)
	s_add_nc_u64 s[40:41], s[2:3], s[40:41]
	s_add_co_u32 s30, s30, s40
	s_cselect_b32 s0, -1, 0
	s_delay_alu instid0(SALU_CYCLE_1) | instskip(SKIP_1) | instid1(SALU_CYCLE_1)
	s_cmp_lg_u32 s0, 0
	s_add_co_ci_u32 s31, s31, s41
	s_mul_u64 s[38:39], s[38:39], s[30:31]
	s_delay_alu instid0(SALU_CYCLE_1)
	s_mul_hi_u32 s41, s30, s39
	s_mul_i32 s40, s30, s39
	s_mul_hi_u32 s2, s30, s38
	s_mul_i32 s27, s31, s38
	s_add_nc_u64 s[40:41], s[2:3], s[40:41]
	s_mul_hi_u32 s0, s31, s38
	s_mul_hi_u32 s37, s31, s39
	s_add_co_u32 s2, s40, s27
	s_add_co_ci_u32 s2, s41, s0
	s_mul_i32 s38, s31, s39
	s_add_co_ci_u32 s39, s37, 0
	s_delay_alu instid0(SALU_CYCLE_1) | instskip(NEXT) | instid1(SALU_CYCLE_1)
	s_add_nc_u64 s[38:39], s[2:3], s[38:39]
	s_add_co_u32 s0, s30, s38
	s_cselect_b32 s2, -1, 0
	v_mul_hi_u32 v26, v18, s0
	s_cmp_lg_u32 s2, 0
	s_add_co_ci_u32 s2, s31, s39
	s_and_b64 s[30:31], s[0:1], s[22:23]
	v_mul_u64_e32 v[20:21], s[2:3], v[18:19]
	v_mul_u64_e32 v[14:15], s[30:31], v[22:23]
	;; [unrolled: 1-line block ×3, first 2 shown]
	s_delay_alu instid0(VALU_DEP_3) | instskip(NEXT) | instid1(VALU_DEP_1)
	v_add_nc_u64_e32 v[20:21], v[26:27], v[20:21]
	v_add_co_u32 v3, vcc_lo, v20, v14
	s_delay_alu instid0(VALU_DEP_2) | instskip(NEXT) | instid1(VALU_DEP_4)
	v_add_co_ci_u32_e32 v26, vcc_lo, v21, v15, vcc_lo
	v_add_co_ci_u32_e32 v25, vcc_lo, 0, v25, vcc_lo
	s_delay_alu instid0(VALU_DEP_1) | instskip(NEXT) | instid1(VALU_DEP_1)
	v_add_nc_u64_e32 v[14:15], v[26:27], v[24:25]
	v_mul_u64_e32 v[20:21], s[28:29], v[14:15]
	s_delay_alu instid0(VALU_DEP_1) | instskip(NEXT) | instid1(VALU_DEP_2)
	v_sub_nc_u32_e32 v3, v22, v21
	v_sub_co_u32 v13, vcc_lo, v18, v20
	s_delay_alu instid0(VALU_DEP_1) | instskip(NEXT) | instid1(VALU_DEP_3)
	v_sub_co_ci_u32_e64 v22, null, v22, v21, vcc_lo
	v_subrev_co_ci_u32_e64 v3, null, s29, v3, vcc_lo
	s_delay_alu instid0(VALU_DEP_3) | instskip(SKIP_1) | instid1(VALU_DEP_3)
	v_sub_co_u32 v17, s0, v13, s28
	v_add_nc_u64_e32 v[20:21], 1, v[14:15]
	v_subrev_co_ci_u32_e64 v3, null, 0, v3, s0
	s_delay_alu instid0(VALU_DEP_3) | instskip(SKIP_1) | instid1(VALU_DEP_3)
	v_cmp_le_u32_e32 vcc_lo, s28, v17
	v_cndmask_b32_e64 v17, 0, -1, vcc_lo
	v_cmp_le_u32_e32 vcc_lo, s29, v3
	v_cndmask_b32_e64 v18, 0, -1, vcc_lo
	;; [unrolled: 2-line block ×4, first 2 shown]
	v_cmp_eq_u32_e32 vcc_lo, s29, v3
	v_cndmask_b32_e32 v3, v18, v17, vcc_lo
	v_cmp_eq_u32_e32 vcc_lo, s29, v22
	v_add_nc_u64_e32 v[18:19], 2, v[14:15]
	v_cndmask_b32_e32 v13, v23, v13, vcc_lo
	s_delay_alu instid0(VALU_DEP_4) | instskip(NEXT) | instid1(VALU_DEP_2)
	v_cmp_ne_u32_e32 vcc_lo, 0, v3
	v_cmp_ne_u32_e64 s0, 0, v13
	s_delay_alu instid0(VALU_DEP_4) | instskip(NEXT) | instid1(VALU_DEP_1)
	v_dual_cndmask_b32 v13, v20, v18, vcc_lo :: v_dual_cndmask_b32 v3, v21, v19, vcc_lo
	v_dual_cndmask_b32 v14, v14, v13, s0 :: v_dual_cndmask_b32 v3, v15, v3, s0
	s_delay_alu instid0(VALU_DEP_1) | instskip(NEXT) | instid1(VALU_DEP_2)
	v_dual_mov_b32 v13, v12 :: v_dual_bitop2_b32 v14, v14, v12 bitop3:0x14
	v_xor_b32_e32 v15, v3, v12
	s_delay_alu instid0(VALU_DEP_1)
	v_sub_nc_u64_e32 v[12:13], v[14:15], v[12:13]
                                        ; implicit-def: $vgpr14_vgpr15
.LBB0_9:                                ;   in Loop: Header=BB0_2 Depth=1
	s_and_not1_saveexec_b32 s0, s25
	s_cbranch_execz .LBB0_11
; %bb.10:                               ;   in Loop: Header=BB0_2 Depth=1
	v_cvt_f32_u32_e32 v3, s12
	s_sub_co_i32 s2, 0, s12
	s_delay_alu instid0(VALU_DEP_1) | instskip(SKIP_1) | instid1(TRANS32_DEP_1)
	v_rcp_iflag_f32_e32 v3, v3
	v_nop
	v_mul_f32_e32 v3, 0x4f7ffffe, v3
	s_delay_alu instid0(VALU_DEP_1) | instskip(NEXT) | instid1(VALU_DEP_1)
	v_cvt_u32_f32_e32 v3, v3
	v_mul_lo_u32 v12, s2, v3
	s_delay_alu instid0(VALU_DEP_1) | instskip(NEXT) | instid1(VALU_DEP_1)
	v_mul_hi_u32 v12, v3, v12
	v_add_nc_u32_e32 v3, v3, v12
	s_delay_alu instid0(VALU_DEP_1) | instskip(NEXT) | instid1(VALU_DEP_1)
	v_mul_hi_u32 v3, v14, v3
	v_mul_lo_u32 v12, v3, s12
	s_delay_alu instid0(VALU_DEP_1) | instskip(NEXT) | instid1(VALU_DEP_1)
	v_dual_add_nc_u32 v13, 1, v3 :: v_dual_sub_nc_u32 v12, v14, v12
	v_subrev_nc_u32_e32 v14, s12, v12
	v_cmp_le_u32_e32 vcc_lo, s12, v12
	s_delay_alu instid0(VALU_DEP_2) | instskip(NEXT) | instid1(VALU_DEP_1)
	v_dual_cndmask_b32 v12, v12, v14 :: v_dual_cndmask_b32 v3, v3, v13
	v_cmp_le_u32_e32 vcc_lo, s12, v12
	s_delay_alu instid0(VALU_DEP_2) | instskip(NEXT) | instid1(VALU_DEP_1)
	v_add_nc_u32_e32 v13, 1, v3
	v_dual_cndmask_b32 v12, v3, v13 :: v_dual_mov_b32 v13, v2
.LBB0_11:                               ;   in Loop: Header=BB0_2 Depth=1
	s_or_b32 exec_lo, exec_lo, s0
	s_delay_alu instid0(VALU_DEP_1) | instskip(SKIP_1) | instid1(VALU_DEP_1)
	v_or_b32_e32 v3, s11, v13
                                        ; implicit-def: $vgpr14_vgpr15
	s_mov_b32 s0, exec_lo
	v_cmpx_ne_u64_e32 0, v[2:3]
	s_xor_b32 s25, exec_lo, s0
	s_cbranch_execz .LBB0_13
; %bb.12:                               ;   in Loop: Header=BB0_2 Depth=1
	s_ashr_i32 s28, s11, 31
	v_dual_mov_b32 v21, v2 :: v_dual_ashrrev_i32 v14, 31, v13
	s_mov_b32 s29, s28
	v_mov_b32_e32 v25, v2
	s_add_nc_u64 s[30:31], s[10:11], s[28:29]
	s_delay_alu instid0(VALU_DEP_2)
	v_mov_b32_e32 v15, v14
	s_xor_b64 s[30:31], s[30:31], s[28:29]
	v_mov_b32_e32 v29, v2
	s_cvt_f32_u32 s0, s30
	s_cvt_f32_u32 s2, s31
	s_sub_nc_u64 s[40:41], 0, s[30:31]
	v_add_nc_u64_e32 v[18:19], v[12:13], v[14:15]
	s_delay_alu instid0(SALU_CYCLE_1) | instskip(NEXT) | instid1(SALU_CYCLE_3)
	s_fmamk_f32 s0, s2, 0x4f800000, s0
	v_s_rcp_f32 s0, s0
	s_delay_alu instid0(VALU_DEP_1) | instskip(NEXT) | instid1(VALU_DEP_2)
	v_xor_b32_e32 v24, v19, v14
	v_xor_b32_e32 v20, v18, v14
	;; [unrolled: 1-line block ×3, first 2 shown]
	s_delay_alu instid0(TRANS32_DEP_1) | instskip(NEXT) | instid1(SALU_CYCLE_3)
	s_mul_f32 s0, s0, 0x5f7ffffc
	s_mul_f32 s2, s0, 0x2f800000
	s_delay_alu instid0(SALU_CYCLE_3) | instskip(NEXT) | instid1(SALU_CYCLE_3)
	s_trunc_f32 s2, s2
	s_fmamk_f32 s0, s2, 0xcf800000, s0
	s_cvt_u32_f32 s39, s2
	s_delay_alu instid0(SALU_CYCLE_2) | instskip(NEXT) | instid1(SALU_CYCLE_3)
	s_cvt_u32_f32 s38, s0
	s_mul_u64 s[42:43], s[40:41], s[38:39]
	s_delay_alu instid0(SALU_CYCLE_1)
	s_mul_hi_u32 s45, s38, s43
	s_mul_i32 s44, s38, s43
	s_mul_hi_u32 s2, s38, s42
	s_mul_i32 s27, s39, s42
	s_add_nc_u64 s[44:45], s[2:3], s[44:45]
	s_mul_hi_u32 s0, s39, s42
	s_mul_hi_u32 s29, s39, s43
	s_add_co_u32 s2, s44, s27
	s_add_co_ci_u32 s2, s45, s0
	s_mul_i32 s42, s39, s43
	s_add_co_ci_u32 s43, s29, 0
	s_delay_alu instid0(SALU_CYCLE_1) | instskip(NEXT) | instid1(SALU_CYCLE_1)
	s_add_nc_u64 s[42:43], s[2:3], s[42:43]
	s_add_co_u32 s38, s38, s42
	s_cselect_b32 s0, -1, 0
	s_delay_alu instid0(SALU_CYCLE_1) | instskip(SKIP_1) | instid1(SALU_CYCLE_1)
	s_cmp_lg_u32 s0, 0
	s_add_co_ci_u32 s39, s39, s43
	s_mul_u64 s[40:41], s[40:41], s[38:39]
	s_delay_alu instid0(SALU_CYCLE_1)
	s_mul_hi_u32 s43, s38, s41
	s_mul_i32 s42, s38, s41
	s_mul_hi_u32 s2, s38, s40
	s_mul_i32 s27, s39, s40
	s_add_nc_u64 s[42:43], s[2:3], s[42:43]
	s_mul_hi_u32 s0, s39, s40
	s_mul_hi_u32 s29, s39, s41
	s_add_co_u32 s2, s42, s27
	s_add_co_ci_u32 s2, s43, s0
	s_mul_i32 s40, s39, s41
	s_add_co_ci_u32 s41, s29, 0
	s_delay_alu instid0(SALU_CYCLE_1) | instskip(NEXT) | instid1(SALU_CYCLE_1)
	s_add_nc_u64 s[40:41], s[2:3], s[40:41]
	s_add_co_u32 s0, s38, s40
	s_cselect_b32 s2, -1, 0
	v_mul_hi_u32 v28, v20, s0
	s_cmp_lg_u32 s2, 0
	s_add_co_ci_u32 s2, s39, s41
	s_and_b64 s[38:39], s[0:1], s[22:23]
	v_mul_u64_e32 v[22:23], s[2:3], v[20:21]
	v_mul_u64_e32 v[18:19], s[38:39], v[24:25]
	;; [unrolled: 1-line block ×3, first 2 shown]
	s_delay_alu instid0(VALU_DEP_3) | instskip(NEXT) | instid1(VALU_DEP_1)
	v_add_nc_u64_e32 v[22:23], v[28:29], v[22:23]
	v_add_co_u32 v3, vcc_lo, v22, v18
	s_delay_alu instid0(VALU_DEP_2) | instskip(NEXT) | instid1(VALU_DEP_4)
	v_add_co_ci_u32_e32 v28, vcc_lo, v23, v19, vcc_lo
	v_add_co_ci_u32_e32 v27, vcc_lo, 0, v27, vcc_lo
	s_delay_alu instid0(VALU_DEP_1) | instskip(NEXT) | instid1(VALU_DEP_1)
	v_add_nc_u64_e32 v[18:19], v[28:29], v[26:27]
	v_mul_u64_e32 v[22:23], s[30:31], v[18:19]
	s_delay_alu instid0(VALU_DEP_1) | instskip(NEXT) | instid1(VALU_DEP_2)
	v_sub_nc_u32_e32 v3, v24, v23
	v_sub_co_u32 v13, vcc_lo, v20, v22
	s_delay_alu instid0(VALU_DEP_1) | instskip(NEXT) | instid1(VALU_DEP_3)
	v_sub_co_ci_u32_e64 v17, null, v24, v23, vcc_lo
	v_subrev_co_ci_u32_e64 v3, null, s31, v3, vcc_lo
	s_delay_alu instid0(VALU_DEP_3) | instskip(SKIP_1) | instid1(VALU_DEP_3)
	v_sub_co_u32 v15, s0, v13, s30
	v_add_nc_u64_e32 v[22:23], 1, v[18:19]
	v_subrev_co_ci_u32_e64 v3, null, 0, v3, s0
	s_delay_alu instid0(VALU_DEP_3) | instskip(SKIP_1) | instid1(VALU_DEP_3)
	v_cmp_le_u32_e32 vcc_lo, s30, v15
	v_cndmask_b32_e64 v15, 0, -1, vcc_lo
	v_cmp_le_u32_e32 vcc_lo, s31, v3
	v_cndmask_b32_e64 v20, 0, -1, vcc_lo
	;; [unrolled: 2-line block ×4, first 2 shown]
	v_cmp_eq_u32_e32 vcc_lo, s31, v3
	v_cndmask_b32_e32 v3, v20, v15, vcc_lo
	v_cmp_eq_u32_e32 vcc_lo, s31, v17
	v_add_nc_u64_e32 v[20:21], 2, v[18:19]
	v_dual_mov_b32 v15, v14 :: v_dual_cndmask_b32 v13, v24, v13, vcc_lo
	s_delay_alu instid0(VALU_DEP_4) | instskip(NEXT) | instid1(VALU_DEP_2)
	v_cmp_ne_u32_e32 vcc_lo, 0, v3
	v_cmp_ne_u32_e64 s0, 0, v13
	s_delay_alu instid0(VALU_DEP_4) | instskip(NEXT) | instid1(VALU_DEP_1)
	v_dual_cndmask_b32 v3, v23, v21, vcc_lo :: v_dual_cndmask_b32 v13, v22, v20, vcc_lo
	v_dual_cndmask_b32 v3, v19, v3, s0 :: v_dual_cndmask_b32 v13, v18, v13, s0
	s_delay_alu instid0(VALU_DEP_1) | instskip(NEXT) | instid1(VALU_DEP_2)
	v_xor_b32_e32 v19, v3, v14
	v_xor_b32_e32 v18, v13, v14
	s_delay_alu instid0(VALU_DEP_1)
	v_sub_nc_u64_e32 v[14:15], v[18:19], v[14:15]
.LBB0_13:                               ;   in Loop: Header=BB0_2 Depth=1
	s_and_not1_saveexec_b32 s0, s25
	s_cbranch_execz .LBB0_15
; %bb.14:                               ;   in Loop: Header=BB0_2 Depth=1
	v_cvt_f32_u32_e32 v3, s10
	s_sub_co_i32 s2, 0, s10
	s_delay_alu instid0(VALU_DEP_1) | instskip(SKIP_1) | instid1(TRANS32_DEP_1)
	v_rcp_iflag_f32_e32 v3, v3
	v_nop
	v_mul_f32_e32 v3, 0x4f7ffffe, v3
	s_delay_alu instid0(VALU_DEP_1) | instskip(NEXT) | instid1(VALU_DEP_1)
	v_cvt_u32_f32_e32 v3, v3
	v_mul_lo_u32 v13, s2, v3
	s_delay_alu instid0(VALU_DEP_1) | instskip(NEXT) | instid1(VALU_DEP_1)
	v_mul_hi_u32 v13, v3, v13
	v_add_nc_u32_e32 v3, v3, v13
	s_delay_alu instid0(VALU_DEP_1) | instskip(NEXT) | instid1(VALU_DEP_1)
	v_mul_hi_u32 v3, v12, v3
	v_mul_lo_u32 v13, v3, s10
	s_delay_alu instid0(VALU_DEP_1) | instskip(NEXT) | instid1(VALU_DEP_1)
	v_dual_add_nc_u32 v14, 1, v3 :: v_dual_sub_nc_u32 v13, v12, v13
	v_subrev_nc_u32_e32 v15, s10, v13
	v_cmp_le_u32_e32 vcc_lo, s10, v13
	s_delay_alu instid0(VALU_DEP_2) | instskip(NEXT) | instid1(VALU_DEP_1)
	v_dual_cndmask_b32 v13, v13, v15, vcc_lo :: v_dual_cndmask_b32 v3, v3, v14, vcc_lo
	v_cmp_le_u32_e32 vcc_lo, s10, v13
	s_delay_alu instid0(VALU_DEP_2) | instskip(NEXT) | instid1(VALU_DEP_1)
	v_add_nc_u32_e32 v14, 1, v3
	v_cndmask_b32_e32 v14, v3, v14, vcc_lo
.LBB0_15:                               ;   in Loop: Header=BB0_2 Depth=1
	s_or_b32 exec_lo, exec_lo, s0
	v_add_nc_u64_e32 v[10:11], s[6:7], v[10:11]
	v_add_nc_u64_e32 v[0:1], s[18:19], v[0:1]
	;; [unrolled: 1-line block ×3, first 2 shown]
	s_and_not1_b32 s0, s35, exec_lo
	s_and_not1_b32 s34, s34, exec_lo
	global_load_u8 v3, v[10:11], off
	s_wait_xcnt 0x0
	v_mul_lo_u32 v10, v14, s10
	v_cmp_le_i64_e32 vcc_lo, s[4:5], v[0:1]
	s_and_b32 s2, vcc_lo, exec_lo
	s_delay_alu instid0(SALU_CYCLE_1) | instskip(NEXT) | instid1(VALU_DEP_2)
	s_or_b32 s35, s0, s2
	v_sub_nc_u32_e32 v10, v12, v10
	v_ashrrev_i32_e32 v12, 31, v14
	s_delay_alu instid0(VALU_DEP_2) | instskip(NEXT) | instid1(VALU_DEP_1)
	v_ashrrev_i32_e32 v11, 31, v10
	v_mad_nc_u64_u32 v[10:11], v14, s10, v[10:11]
	s_delay_alu instid0(VALU_DEP_1) | instskip(NEXT) | instid1(VALU_DEP_2)
	v_mad_u32 v11, v12, s10, v11
	v_mad_nc_u64_u32 v[4:5], s16, v10, v[4:5]
	s_delay_alu instid0(VALU_DEP_2) | instskip(NEXT) | instid1(VALU_DEP_2)
	v_mad_u32 v11, v14, s11, v11
	v_mad_u32 v5, s17, v10, v5
	s_delay_alu instid0(VALU_DEP_1) | instskip(NEXT) | instid1(VALU_DEP_1)
	v_mad_u32 v5, s16, v11, v5
	v_add_nc_u64_e32 v[8:9], v[4:5], v[8:9]
	s_wait_loadcnt 0x0
	global_store_b8 v[8:9], v3, off
.LBB0_16:                               ;   in Loop: Header=BB0_2 Depth=1
	s_wait_xcnt 0x0
	s_or_b32 exec_lo, exec_lo, s36
	s_delay_alu instid0(SALU_CYCLE_1) | instskip(NEXT) | instid1(SALU_CYCLE_1)
	s_and_b32 s0, exec_lo, s35
	s_or_b32 s1, s0, s1
	s_and_not1_b32 s0, s33, exec_lo
	s_and_b32 s2, s34, exec_lo
	s_delay_alu instid0(SALU_CYCLE_1)
	s_or_b32 s33, s0, s2
	s_and_not1_b32 exec_lo, exec_lo, s1
	s_cbranch_execnz .LBB0_2
; %bb.17:
	s_or_b32 exec_lo, exec_lo, s1
	s_and_saveexec_b32 s0, s33
	s_delay_alu instid0(SALU_CYCLE_1)
	s_xor_b32 s0, exec_lo, s0
	s_cbranch_execnz .LBB0_19
.LBB0_18:
	s_endpgm
.LBB0_19:
	s_trap 2
	; divergent unreachable
	s_endpgm
	.section	.rodata,"a",@progbits
	.p2align	6, 0x0
	.amdhsa_kernel _ZN2at6native30max_unpooling2d_forward_kernelIhEEvlPKT_PKllllllPS2_
		.amdhsa_group_segment_fixed_size 0
		.amdhsa_private_segment_fixed_size 0
		.amdhsa_kernarg_size 328
		.amdhsa_user_sgpr_count 2
		.amdhsa_user_sgpr_dispatch_ptr 0
		.amdhsa_user_sgpr_queue_ptr 0
		.amdhsa_user_sgpr_kernarg_segment_ptr 1
		.amdhsa_user_sgpr_dispatch_id 0
		.amdhsa_user_sgpr_kernarg_preload_length 0
		.amdhsa_user_sgpr_kernarg_preload_offset 0
		.amdhsa_user_sgpr_private_segment_size 0
		.amdhsa_wavefront_size32 1
		.amdhsa_uses_dynamic_stack 0
		.amdhsa_enable_private_segment 0
		.amdhsa_system_sgpr_workgroup_id_x 1
		.amdhsa_system_sgpr_workgroup_id_y 0
		.amdhsa_system_sgpr_workgroup_id_z 0
		.amdhsa_system_sgpr_workgroup_info 0
		.amdhsa_system_vgpr_workitem_id 0
		.amdhsa_next_free_vgpr 30
		.amdhsa_next_free_sgpr 46
		.amdhsa_named_barrier_count 0
		.amdhsa_reserve_vcc 1
		.amdhsa_float_round_mode_32 0
		.amdhsa_float_round_mode_16_64 0
		.amdhsa_float_denorm_mode_32 3
		.amdhsa_float_denorm_mode_16_64 3
		.amdhsa_fp16_overflow 0
		.amdhsa_memory_ordered 1
		.amdhsa_forward_progress 1
		.amdhsa_inst_pref_size 22
		.amdhsa_round_robin_scheduling 0
		.amdhsa_exception_fp_ieee_invalid_op 0
		.amdhsa_exception_fp_denorm_src 0
		.amdhsa_exception_fp_ieee_div_zero 0
		.amdhsa_exception_fp_ieee_overflow 0
		.amdhsa_exception_fp_ieee_underflow 0
		.amdhsa_exception_fp_ieee_inexact 0
		.amdhsa_exception_int_div_zero 0
	.end_amdhsa_kernel
	.section	.text._ZN2at6native30max_unpooling2d_forward_kernelIhEEvlPKT_PKllllllPS2_,"axG",@progbits,_ZN2at6native30max_unpooling2d_forward_kernelIhEEvlPKT_PKllllllPS2_,comdat
.Lfunc_end0:
	.size	_ZN2at6native30max_unpooling2d_forward_kernelIhEEvlPKT_PKllllllPS2_, .Lfunc_end0-_ZN2at6native30max_unpooling2d_forward_kernelIhEEvlPKT_PKllllllPS2_
                                        ; -- End function
	.set _ZN2at6native30max_unpooling2d_forward_kernelIhEEvlPKT_PKllllllPS2_.num_vgpr, 30
	.set _ZN2at6native30max_unpooling2d_forward_kernelIhEEvlPKT_PKllllllPS2_.num_agpr, 0
	.set _ZN2at6native30max_unpooling2d_forward_kernelIhEEvlPKT_PKllllllPS2_.numbered_sgpr, 46
	.set _ZN2at6native30max_unpooling2d_forward_kernelIhEEvlPKT_PKllllllPS2_.num_named_barrier, 0
	.set _ZN2at6native30max_unpooling2d_forward_kernelIhEEvlPKT_PKllllllPS2_.private_seg_size, 0
	.set _ZN2at6native30max_unpooling2d_forward_kernelIhEEvlPKT_PKllllllPS2_.uses_vcc, 1
	.set _ZN2at6native30max_unpooling2d_forward_kernelIhEEvlPKT_PKllllllPS2_.uses_flat_scratch, 0
	.set _ZN2at6native30max_unpooling2d_forward_kernelIhEEvlPKT_PKllllllPS2_.has_dyn_sized_stack, 0
	.set _ZN2at6native30max_unpooling2d_forward_kernelIhEEvlPKT_PKllllllPS2_.has_recursion, 0
	.set _ZN2at6native30max_unpooling2d_forward_kernelIhEEvlPKT_PKllllllPS2_.has_indirect_call, 0
	.section	.AMDGPU.csdata,"",@progbits
; Kernel info:
; codeLenInByte = 2704
; TotalNumSgprs: 48
; NumVgprs: 30
; ScratchSize: 0
; MemoryBound: 0
; FloatMode: 240
; IeeeMode: 1
; LDSByteSize: 0 bytes/workgroup (compile time only)
; SGPRBlocks: 0
; VGPRBlocks: 1
; NumSGPRsForWavesPerEU: 48
; NumVGPRsForWavesPerEU: 30
; NamedBarCnt: 0
; Occupancy: 16
; WaveLimiterHint : 1
; COMPUTE_PGM_RSRC2:SCRATCH_EN: 0
; COMPUTE_PGM_RSRC2:USER_SGPR: 2
; COMPUTE_PGM_RSRC2:TRAP_HANDLER: 0
; COMPUTE_PGM_RSRC2:TGID_X_EN: 1
; COMPUTE_PGM_RSRC2:TGID_Y_EN: 0
; COMPUTE_PGM_RSRC2:TGID_Z_EN: 0
; COMPUTE_PGM_RSRC2:TIDIG_COMP_CNT: 0
	.section	.text._ZN2at6native30max_unpooling2d_forward_kernelIaEEvlPKT_PKllllllPS2_,"axG",@progbits,_ZN2at6native30max_unpooling2d_forward_kernelIaEEvlPKT_PKllllllPS2_,comdat
	.protected	_ZN2at6native30max_unpooling2d_forward_kernelIaEEvlPKT_PKllllllPS2_ ; -- Begin function _ZN2at6native30max_unpooling2d_forward_kernelIaEEvlPKT_PKllllllPS2_
	.globl	_ZN2at6native30max_unpooling2d_forward_kernelIaEEvlPKT_PKllllllPS2_
	.p2align	8
	.type	_ZN2at6native30max_unpooling2d_forward_kernelIaEEvlPKT_PKllllllPS2_,@function
_ZN2at6native30max_unpooling2d_forward_kernelIaEEvlPKT_PKllllllPS2_: ; @_ZN2at6native30max_unpooling2d_forward_kernelIaEEvlPKT_PKllllllPS2_
; %bb.0:
	s_load_b32 s2, s[0:1], 0x54
	s_bfe_u32 s4, ttmp6, 0x4000c
	v_mov_b32_e32 v2, 0
	s_add_co_i32 s21, s4, 1
	s_load_b512 s[4:19], s[0:1], 0x0
	s_and_b32 s3, ttmp6, 15
	s_mul_i32 s21, ttmp9, s21
	s_getreg_b32 s20, hwreg(HW_REG_IB_STS2, 6, 4)
	v_mov_b32_e32 v1, v2
	s_add_co_i32 s3, s3, s21
	s_wait_kmcnt 0x0
	s_and_b32 s2, s2, 0xffff
	s_cmp_eq_u32 s20, 0
	s_mov_b32 s20, exec_lo
	s_cselect_b32 s3, ttmp9, s3
	s_delay_alu instid0(SALU_CYCLE_1) | instskip(SKIP_1) | instid1(VALU_DEP_1)
	v_mad_nc_u64_u32 v[0:1], s2, s3, v[0:1]
	s_mov_b32 s3, 0
	v_cmpx_gt_i64_e64 s[4:5], v[0:1]
	s_cbranch_execz .LBB1_18
; %bb.1:
	v_cvt_f32_u32_e32 v3, s14
	s_sub_co_i32 s22, 0, s14
	s_add_nc_u64 s[20:21], s[0:1], 0x48
	s_load_b64 s[0:1], s[0:1], 0x40
	s_mul_u64 s[16:17], s[18:19], s[16:17]
	v_rcp_iflag_f32_e32 v3, v3
	s_load_b32 s21, s[20:21], 0x0
	s_mov_b32 s19, s3
	s_wait_xcnt 0x0
	s_mov_b32 s20, s3
	s_ashr_i32 s24, s15, 31
	s_ashr_i32 s26, s13, 31
                                        ; implicit-def: $sgpr33
                                        ; implicit-def: $sgpr35
                                        ; implicit-def: $sgpr34
	v_nop
	v_mul_f32_e32 v3, 0x4f7ffffe, v3
	s_delay_alu instid0(VALU_DEP_1) | instskip(NEXT) | instid1(VALU_DEP_1)
	v_cvt_u32_f32_e32 v6, v3
	v_mul_lo_u32 v3, s22, v6
	s_wait_kmcnt 0x0
	v_mov_b64_e32 v[4:5], s[0:1]
	s_mov_b64 s[22:23], 0xffffffff
	s_mov_b32 s1, 0
	s_mul_i32 s18, s21, s2
	s_delay_alu instid0(SALU_CYCLE_1) | instskip(NEXT) | instid1(VALU_DEP_2)
	s_mov_b32 s21, s18
	v_mul_hi_u32 v7, v6, v3
	s_delay_alu instid0(VALU_DEP_1) | instskip(NEXT) | instid1(VALU_DEP_1)
	v_dual_mov_b32 v3, v0 :: v_dual_add_nc_u32 v16, v6, v7
	v_mov_b64_e32 v[6:7], v[2:3]
.LBB1_2:                                ; =>This Inner Loop Header: Depth=1
	s_delay_alu instid0(VALU_DEP_1) | instskip(SKIP_2) | instid1(VALU_DEP_1)
	v_ashrrev_i64 v[8:9], 29, v[6:7]
	s_or_b32 s34, s34, exec_lo
	s_or_b32 s35, s35, exec_lo
	v_add_nc_u64_e32 v[8:9], s[8:9], v[8:9]
	global_load_b64 v[8:9], v[8:9], off
	s_wait_loadcnt 0x0
	s_wait_xcnt 0x0
	v_ashrrev_i32_e32 v9, 31, v8
	v_cmp_lt_i32_e64 s0, -1, v8
	s_delay_alu instid0(VALU_DEP_2) | instskip(SKIP_1) | instid1(SALU_CYCLE_1)
	v_cmp_gt_i64_e32 vcc_lo, s[16:17], v[8:9]
	s_and_b32 s0, s0, vcc_lo
	s_and_saveexec_b32 s36, s0
	s_cbranch_execz .LBB1_16
; %bb.3:                                ;   in Loop: Header=BB1_2 Depth=1
	v_dual_mov_b32 v10, v7 :: v_dual_ashrrev_i32 v11, 31, v7
                                        ; implicit-def: $vgpr14_vgpr15
	s_mov_b32 s0, exec_lo
	s_delay_alu instid0(VALU_DEP_1) | instskip(NEXT) | instid1(VALU_DEP_1)
	v_or_b32_e32 v3, s15, v11
	v_cmpx_ne_u64_e32 0, v[2:3]
	s_xor_b32 s27, exec_lo, s0
	s_cbranch_execz .LBB1_5
; %bb.4:                                ;   in Loop: Header=BB1_2 Depth=1
	s_mov_b32 s25, s24
	v_dual_mov_b32 v19, v2 :: v_dual_ashrrev_i32 v12, 31, v11
	s_add_nc_u64 s[28:29], s[14:15], s[24:25]
	v_mov_b32_e32 v27, v2
	s_xor_b64 s[28:29], s[28:29], s[24:25]
	s_delay_alu instid0(VALU_DEP_2) | instskip(SKIP_3) | instid1(VALU_DEP_1)
	v_mov_b32_e32 v13, v12
	s_cvt_f32_u32 s0, s28
	s_cvt_f32_u32 s2, s29
	s_sub_nc_u64 s[38:39], 0, s[28:29]
	v_add_nc_u64_e32 v[14:15], v[10:11], v[12:13]
	s_delay_alu instid0(SALU_CYCLE_1) | instskip(SKIP_1) | instid1(SALU_CYCLE_2)
	s_fmamk_f32 s0, s2, 0x4f800000, s0
	v_mov_b32_e32 v23, v2
	v_s_rcp_f32 s0, s0
	s_delay_alu instid0(VALU_DEP_2) | instskip(NEXT) | instid1(VALU_DEP_3)
	v_xor_b32_e32 v18, v14, v12
	v_xor_b32_e32 v22, v15, v12
	;; [unrolled: 1-line block ×3, first 2 shown]
	s_delay_alu instid0(TRANS32_DEP_1) | instskip(NEXT) | instid1(SALU_CYCLE_3)
	s_mul_f32 s0, s0, 0x5f7ffffc
	s_mul_f32 s2, s0, 0x2f800000
	s_delay_alu instid0(SALU_CYCLE_3) | instskip(NEXT) | instid1(SALU_CYCLE_3)
	s_trunc_f32 s2, s2
	s_fmamk_f32 s0, s2, 0xcf800000, s0
	s_cvt_u32_f32 s31, s2
	s_delay_alu instid0(SALU_CYCLE_2) | instskip(NEXT) | instid1(SALU_CYCLE_3)
	s_cvt_u32_f32 s30, s0
	s_mul_u64 s[40:41], s[38:39], s[30:31]
	s_delay_alu instid0(SALU_CYCLE_1)
	s_mul_hi_u32 s43, s30, s41
	s_mul_i32 s42, s30, s41
	s_mul_hi_u32 s2, s30, s40
	s_mul_i32 s25, s31, s40
	s_add_nc_u64 s[42:43], s[2:3], s[42:43]
	s_mul_hi_u32 s0, s31, s40
	s_mul_hi_u32 s37, s31, s41
	s_add_co_u32 s2, s42, s25
	s_add_co_ci_u32 s2, s43, s0
	s_mul_i32 s40, s31, s41
	s_add_co_ci_u32 s41, s37, 0
	s_delay_alu instid0(SALU_CYCLE_1) | instskip(NEXT) | instid1(SALU_CYCLE_1)
	s_add_nc_u64 s[40:41], s[2:3], s[40:41]
	s_add_co_u32 s30, s30, s40
	s_cselect_b32 s0, -1, 0
	s_delay_alu instid0(SALU_CYCLE_1) | instskip(SKIP_1) | instid1(SALU_CYCLE_1)
	s_cmp_lg_u32 s0, 0
	s_add_co_ci_u32 s31, s31, s41
	s_mul_u64 s[38:39], s[38:39], s[30:31]
	s_delay_alu instid0(SALU_CYCLE_1)
	s_mul_hi_u32 s41, s30, s39
	s_mul_i32 s40, s30, s39
	s_mul_hi_u32 s2, s30, s38
	s_mul_i32 s25, s31, s38
	s_add_nc_u64 s[40:41], s[2:3], s[40:41]
	s_mul_hi_u32 s0, s31, s38
	s_mul_hi_u32 s37, s31, s39
	s_add_co_u32 s2, s40, s25
	s_add_co_ci_u32 s2, s41, s0
	s_mul_i32 s38, s31, s39
	s_add_co_ci_u32 s39, s37, 0
	s_delay_alu instid0(SALU_CYCLE_1) | instskip(NEXT) | instid1(SALU_CYCLE_1)
	s_add_nc_u64 s[38:39], s[2:3], s[38:39]
	s_add_co_u32 s0, s30, s38
	s_cselect_b32 s2, -1, 0
	v_mul_hi_u32 v26, v18, s0
	s_cmp_lg_u32 s2, 0
	s_add_co_ci_u32 s2, s31, s39
	s_and_b64 s[30:31], s[0:1], s[22:23]
	v_mul_u64_e32 v[20:21], s[2:3], v[18:19]
	v_mul_u64_e32 v[14:15], s[30:31], v[22:23]
	;; [unrolled: 1-line block ×3, first 2 shown]
	s_delay_alu instid0(VALU_DEP_3) | instskip(NEXT) | instid1(VALU_DEP_1)
	v_add_nc_u64_e32 v[20:21], v[26:27], v[20:21]
	v_add_co_u32 v3, vcc_lo, v20, v14
	s_delay_alu instid0(VALU_DEP_2) | instskip(NEXT) | instid1(VALU_DEP_4)
	v_add_co_ci_u32_e32 v26, vcc_lo, v21, v15, vcc_lo
	v_add_co_ci_u32_e32 v25, vcc_lo, 0, v25, vcc_lo
	s_delay_alu instid0(VALU_DEP_1) | instskip(NEXT) | instid1(VALU_DEP_1)
	v_add_nc_u64_e32 v[14:15], v[26:27], v[24:25]
	v_mul_u64_e32 v[20:21], s[28:29], v[14:15]
	s_delay_alu instid0(VALU_DEP_1) | instskip(NEXT) | instid1(VALU_DEP_2)
	v_sub_nc_u32_e32 v3, v22, v21
	v_sub_co_u32 v13, vcc_lo, v18, v20
	s_delay_alu instid0(VALU_DEP_1) | instskip(NEXT) | instid1(VALU_DEP_3)
	v_sub_co_ci_u32_e64 v22, null, v22, v21, vcc_lo
	v_subrev_co_ci_u32_e64 v3, null, s29, v3, vcc_lo
	s_delay_alu instid0(VALU_DEP_3) | instskip(SKIP_1) | instid1(VALU_DEP_3)
	v_sub_co_u32 v17, s0, v13, s28
	v_add_nc_u64_e32 v[20:21], 1, v[14:15]
	v_subrev_co_ci_u32_e64 v3, null, 0, v3, s0
	s_delay_alu instid0(VALU_DEP_3) | instskip(SKIP_1) | instid1(VALU_DEP_3)
	v_cmp_le_u32_e32 vcc_lo, s28, v17
	v_cndmask_b32_e64 v17, 0, -1, vcc_lo
	v_cmp_le_u32_e32 vcc_lo, s29, v3
	v_cndmask_b32_e64 v18, 0, -1, vcc_lo
	;; [unrolled: 2-line block ×4, first 2 shown]
	v_cmp_eq_u32_e32 vcc_lo, s29, v3
	v_cndmask_b32_e32 v3, v18, v17, vcc_lo
	v_cmp_eq_u32_e32 vcc_lo, s29, v22
	v_add_nc_u64_e32 v[18:19], 2, v[14:15]
	v_cndmask_b32_e32 v13, v23, v13, vcc_lo
	s_delay_alu instid0(VALU_DEP_4) | instskip(NEXT) | instid1(VALU_DEP_2)
	v_cmp_ne_u32_e32 vcc_lo, 0, v3
	v_cmp_ne_u32_e64 s0, 0, v13
	s_delay_alu instid0(VALU_DEP_4) | instskip(NEXT) | instid1(VALU_DEP_1)
	v_dual_cndmask_b32 v13, v20, v18, vcc_lo :: v_dual_cndmask_b32 v3, v21, v19, vcc_lo
	v_dual_cndmask_b32 v14, v14, v13, s0 :: v_dual_cndmask_b32 v3, v15, v3, s0
	s_delay_alu instid0(VALU_DEP_1) | instskip(NEXT) | instid1(VALU_DEP_2)
	v_dual_mov_b32 v13, v12 :: v_dual_bitop2_b32 v14, v14, v12 bitop3:0x14
	v_xor_b32_e32 v15, v3, v12
	s_delay_alu instid0(VALU_DEP_1)
	v_sub_nc_u64_e32 v[14:15], v[14:15], v[12:13]
.LBB1_5:                                ;   in Loop: Header=BB1_2 Depth=1
	s_and_not1_saveexec_b32 s0, s27
	s_cbranch_execz .LBB1_7
; %bb.6:                                ;   in Loop: Header=BB1_2 Depth=1
	v_mul_hi_u32 v3, v7, v16
	v_mov_b32_e32 v15, v2
	s_delay_alu instid0(VALU_DEP_2) | instskip(NEXT) | instid1(VALU_DEP_1)
	v_mul_lo_u32 v12, v3, s14
	v_dual_add_nc_u32 v13, 1, v3 :: v_dual_sub_nc_u32 v12, v7, v12
	s_delay_alu instid0(VALU_DEP_1) | instskip(SKIP_1) | instid1(VALU_DEP_2)
	v_subrev_nc_u32_e32 v14, s14, v12
	v_cmp_le_u32_e32 vcc_lo, s14, v12
	v_dual_cndmask_b32 v12, v12, v14 :: v_dual_cndmask_b32 v3, v3, v13
	s_delay_alu instid0(VALU_DEP_1) | instskip(NEXT) | instid1(VALU_DEP_2)
	v_cmp_le_u32_e32 vcc_lo, s14, v12
	v_add_nc_u32_e32 v13, 1, v3
	s_delay_alu instid0(VALU_DEP_1)
	v_cndmask_b32_e32 v14, v3, v13, vcc_lo
.LBB1_7:                                ;   in Loop: Header=BB1_2 Depth=1
	s_or_b32 exec_lo, exec_lo, s0
	s_delay_alu instid0(VALU_DEP_1) | instskip(SKIP_1) | instid1(VALU_DEP_1)
	v_or_b32_e32 v3, s13, v15
                                        ; implicit-def: $vgpr12_vgpr13
	s_mov_b32 s0, exec_lo
	v_cmpx_ne_u64_e32 0, v[2:3]
	s_xor_b32 s25, exec_lo, s0
	s_cbranch_execz .LBB1_9
; %bb.8:                                ;   in Loop: Header=BB1_2 Depth=1
	s_mov_b32 s27, s26
	v_dual_mov_b32 v19, v2 :: v_dual_ashrrev_i32 v12, 31, v15
	s_add_nc_u64 s[28:29], s[12:13], s[26:27]
	v_mov_b32_e32 v27, v2
	s_xor_b64 s[28:29], s[28:29], s[26:27]
	s_delay_alu instid0(VALU_DEP_2) | instskip(SKIP_3) | instid1(VALU_DEP_1)
	v_mov_b32_e32 v13, v12
	s_cvt_f32_u32 s0, s28
	s_cvt_f32_u32 s2, s29
	s_sub_nc_u64 s[38:39], 0, s[28:29]
	v_add_nc_u64_e32 v[14:15], v[14:15], v[12:13]
	s_delay_alu instid0(SALU_CYCLE_1) | instskip(SKIP_1) | instid1(SALU_CYCLE_2)
	s_fmamk_f32 s0, s2, 0x4f800000, s0
	v_mov_b32_e32 v23, v2
	v_s_rcp_f32 s0, s0
	s_delay_alu instid0(VALU_DEP_2) | instskip(NEXT) | instid1(VALU_DEP_3)
	v_xor_b32_e32 v18, v14, v12
	v_xor_b32_e32 v22, v15, v12
	;; [unrolled: 1-line block ×3, first 2 shown]
	s_delay_alu instid0(TRANS32_DEP_1) | instskip(NEXT) | instid1(SALU_CYCLE_3)
	s_mul_f32 s0, s0, 0x5f7ffffc
	s_mul_f32 s2, s0, 0x2f800000
	s_delay_alu instid0(SALU_CYCLE_3) | instskip(NEXT) | instid1(SALU_CYCLE_3)
	s_trunc_f32 s2, s2
	s_fmamk_f32 s0, s2, 0xcf800000, s0
	s_cvt_u32_f32 s31, s2
	s_delay_alu instid0(SALU_CYCLE_2) | instskip(NEXT) | instid1(SALU_CYCLE_3)
	s_cvt_u32_f32 s30, s0
	s_mul_u64 s[40:41], s[38:39], s[30:31]
	s_delay_alu instid0(SALU_CYCLE_1)
	s_mul_hi_u32 s43, s30, s41
	s_mul_i32 s42, s30, s41
	s_mul_hi_u32 s2, s30, s40
	s_mul_i32 s27, s31, s40
	s_add_nc_u64 s[42:43], s[2:3], s[42:43]
	s_mul_hi_u32 s0, s31, s40
	s_mul_hi_u32 s37, s31, s41
	s_add_co_u32 s2, s42, s27
	s_add_co_ci_u32 s2, s43, s0
	s_mul_i32 s40, s31, s41
	s_add_co_ci_u32 s41, s37, 0
	s_delay_alu instid0(SALU_CYCLE_1) | instskip(NEXT) | instid1(SALU_CYCLE_1)
	s_add_nc_u64 s[40:41], s[2:3], s[40:41]
	s_add_co_u32 s30, s30, s40
	s_cselect_b32 s0, -1, 0
	s_delay_alu instid0(SALU_CYCLE_1) | instskip(SKIP_1) | instid1(SALU_CYCLE_1)
	s_cmp_lg_u32 s0, 0
	s_add_co_ci_u32 s31, s31, s41
	s_mul_u64 s[38:39], s[38:39], s[30:31]
	s_delay_alu instid0(SALU_CYCLE_1)
	s_mul_hi_u32 s41, s30, s39
	s_mul_i32 s40, s30, s39
	s_mul_hi_u32 s2, s30, s38
	s_mul_i32 s27, s31, s38
	s_add_nc_u64 s[40:41], s[2:3], s[40:41]
	s_mul_hi_u32 s0, s31, s38
	s_mul_hi_u32 s37, s31, s39
	s_add_co_u32 s2, s40, s27
	s_add_co_ci_u32 s2, s41, s0
	s_mul_i32 s38, s31, s39
	s_add_co_ci_u32 s39, s37, 0
	s_delay_alu instid0(SALU_CYCLE_1) | instskip(NEXT) | instid1(SALU_CYCLE_1)
	s_add_nc_u64 s[38:39], s[2:3], s[38:39]
	s_add_co_u32 s0, s30, s38
	s_cselect_b32 s2, -1, 0
	v_mul_hi_u32 v26, v18, s0
	s_cmp_lg_u32 s2, 0
	s_add_co_ci_u32 s2, s31, s39
	s_and_b64 s[30:31], s[0:1], s[22:23]
	v_mul_u64_e32 v[20:21], s[2:3], v[18:19]
	v_mul_u64_e32 v[14:15], s[30:31], v[22:23]
	;; [unrolled: 1-line block ×3, first 2 shown]
	s_delay_alu instid0(VALU_DEP_3) | instskip(NEXT) | instid1(VALU_DEP_1)
	v_add_nc_u64_e32 v[20:21], v[26:27], v[20:21]
	v_add_co_u32 v3, vcc_lo, v20, v14
	s_delay_alu instid0(VALU_DEP_2) | instskip(NEXT) | instid1(VALU_DEP_4)
	v_add_co_ci_u32_e32 v26, vcc_lo, v21, v15, vcc_lo
	v_add_co_ci_u32_e32 v25, vcc_lo, 0, v25, vcc_lo
	s_delay_alu instid0(VALU_DEP_1) | instskip(NEXT) | instid1(VALU_DEP_1)
	v_add_nc_u64_e32 v[14:15], v[26:27], v[24:25]
	v_mul_u64_e32 v[20:21], s[28:29], v[14:15]
	s_delay_alu instid0(VALU_DEP_1) | instskip(NEXT) | instid1(VALU_DEP_2)
	v_sub_nc_u32_e32 v3, v22, v21
	v_sub_co_u32 v13, vcc_lo, v18, v20
	s_delay_alu instid0(VALU_DEP_1) | instskip(NEXT) | instid1(VALU_DEP_3)
	v_sub_co_ci_u32_e64 v22, null, v22, v21, vcc_lo
	v_subrev_co_ci_u32_e64 v3, null, s29, v3, vcc_lo
	s_delay_alu instid0(VALU_DEP_3) | instskip(SKIP_1) | instid1(VALU_DEP_3)
	v_sub_co_u32 v17, s0, v13, s28
	v_add_nc_u64_e32 v[20:21], 1, v[14:15]
	v_subrev_co_ci_u32_e64 v3, null, 0, v3, s0
	s_delay_alu instid0(VALU_DEP_3) | instskip(SKIP_1) | instid1(VALU_DEP_3)
	v_cmp_le_u32_e32 vcc_lo, s28, v17
	v_cndmask_b32_e64 v17, 0, -1, vcc_lo
	v_cmp_le_u32_e32 vcc_lo, s29, v3
	v_cndmask_b32_e64 v18, 0, -1, vcc_lo
	;; [unrolled: 2-line block ×4, first 2 shown]
	v_cmp_eq_u32_e32 vcc_lo, s29, v3
	v_cndmask_b32_e32 v3, v18, v17, vcc_lo
	v_cmp_eq_u32_e32 vcc_lo, s29, v22
	v_add_nc_u64_e32 v[18:19], 2, v[14:15]
	v_cndmask_b32_e32 v13, v23, v13, vcc_lo
	s_delay_alu instid0(VALU_DEP_4) | instskip(NEXT) | instid1(VALU_DEP_2)
	v_cmp_ne_u32_e32 vcc_lo, 0, v3
	v_cmp_ne_u32_e64 s0, 0, v13
	s_delay_alu instid0(VALU_DEP_4) | instskip(NEXT) | instid1(VALU_DEP_1)
	v_dual_cndmask_b32 v13, v20, v18, vcc_lo :: v_dual_cndmask_b32 v3, v21, v19, vcc_lo
	v_dual_cndmask_b32 v14, v14, v13, s0 :: v_dual_cndmask_b32 v3, v15, v3, s0
	s_delay_alu instid0(VALU_DEP_1) | instskip(NEXT) | instid1(VALU_DEP_2)
	v_dual_mov_b32 v13, v12 :: v_dual_bitop2_b32 v14, v14, v12 bitop3:0x14
	v_xor_b32_e32 v15, v3, v12
	s_delay_alu instid0(VALU_DEP_1)
	v_sub_nc_u64_e32 v[12:13], v[14:15], v[12:13]
                                        ; implicit-def: $vgpr14_vgpr15
.LBB1_9:                                ;   in Loop: Header=BB1_2 Depth=1
	s_and_not1_saveexec_b32 s0, s25
	s_cbranch_execz .LBB1_11
; %bb.10:                               ;   in Loop: Header=BB1_2 Depth=1
	v_cvt_f32_u32_e32 v3, s12
	s_sub_co_i32 s2, 0, s12
	s_delay_alu instid0(VALU_DEP_1) | instskip(SKIP_1) | instid1(TRANS32_DEP_1)
	v_rcp_iflag_f32_e32 v3, v3
	v_nop
	v_mul_f32_e32 v3, 0x4f7ffffe, v3
	s_delay_alu instid0(VALU_DEP_1) | instskip(NEXT) | instid1(VALU_DEP_1)
	v_cvt_u32_f32_e32 v3, v3
	v_mul_lo_u32 v12, s2, v3
	s_delay_alu instid0(VALU_DEP_1) | instskip(NEXT) | instid1(VALU_DEP_1)
	v_mul_hi_u32 v12, v3, v12
	v_add_nc_u32_e32 v3, v3, v12
	s_delay_alu instid0(VALU_DEP_1) | instskip(NEXT) | instid1(VALU_DEP_1)
	v_mul_hi_u32 v3, v14, v3
	v_mul_lo_u32 v12, v3, s12
	s_delay_alu instid0(VALU_DEP_1) | instskip(NEXT) | instid1(VALU_DEP_1)
	v_dual_add_nc_u32 v13, 1, v3 :: v_dual_sub_nc_u32 v12, v14, v12
	v_subrev_nc_u32_e32 v14, s12, v12
	v_cmp_le_u32_e32 vcc_lo, s12, v12
	s_delay_alu instid0(VALU_DEP_2) | instskip(NEXT) | instid1(VALU_DEP_1)
	v_dual_cndmask_b32 v12, v12, v14 :: v_dual_cndmask_b32 v3, v3, v13
	v_cmp_le_u32_e32 vcc_lo, s12, v12
	s_delay_alu instid0(VALU_DEP_2) | instskip(NEXT) | instid1(VALU_DEP_1)
	v_add_nc_u32_e32 v13, 1, v3
	v_dual_cndmask_b32 v12, v3, v13 :: v_dual_mov_b32 v13, v2
.LBB1_11:                               ;   in Loop: Header=BB1_2 Depth=1
	s_or_b32 exec_lo, exec_lo, s0
	s_delay_alu instid0(VALU_DEP_1) | instskip(SKIP_1) | instid1(VALU_DEP_1)
	v_or_b32_e32 v3, s11, v13
                                        ; implicit-def: $vgpr14_vgpr15
	s_mov_b32 s0, exec_lo
	v_cmpx_ne_u64_e32 0, v[2:3]
	s_xor_b32 s25, exec_lo, s0
	s_cbranch_execz .LBB1_13
; %bb.12:                               ;   in Loop: Header=BB1_2 Depth=1
	s_ashr_i32 s28, s11, 31
	v_dual_mov_b32 v21, v2 :: v_dual_ashrrev_i32 v14, 31, v13
	s_mov_b32 s29, s28
	v_mov_b32_e32 v25, v2
	s_add_nc_u64 s[30:31], s[10:11], s[28:29]
	s_delay_alu instid0(VALU_DEP_2)
	v_mov_b32_e32 v15, v14
	s_xor_b64 s[30:31], s[30:31], s[28:29]
	v_mov_b32_e32 v29, v2
	s_cvt_f32_u32 s0, s30
	s_cvt_f32_u32 s2, s31
	s_sub_nc_u64 s[40:41], 0, s[30:31]
	v_add_nc_u64_e32 v[18:19], v[12:13], v[14:15]
	s_delay_alu instid0(SALU_CYCLE_1) | instskip(NEXT) | instid1(SALU_CYCLE_3)
	s_fmamk_f32 s0, s2, 0x4f800000, s0
	v_s_rcp_f32 s0, s0
	s_delay_alu instid0(VALU_DEP_1) | instskip(NEXT) | instid1(VALU_DEP_2)
	v_xor_b32_e32 v24, v19, v14
	v_xor_b32_e32 v20, v18, v14
	;; [unrolled: 1-line block ×3, first 2 shown]
	s_delay_alu instid0(TRANS32_DEP_1) | instskip(NEXT) | instid1(SALU_CYCLE_3)
	s_mul_f32 s0, s0, 0x5f7ffffc
	s_mul_f32 s2, s0, 0x2f800000
	s_delay_alu instid0(SALU_CYCLE_3) | instskip(NEXT) | instid1(SALU_CYCLE_3)
	s_trunc_f32 s2, s2
	s_fmamk_f32 s0, s2, 0xcf800000, s0
	s_cvt_u32_f32 s39, s2
	s_delay_alu instid0(SALU_CYCLE_2) | instskip(NEXT) | instid1(SALU_CYCLE_3)
	s_cvt_u32_f32 s38, s0
	s_mul_u64 s[42:43], s[40:41], s[38:39]
	s_delay_alu instid0(SALU_CYCLE_1)
	s_mul_hi_u32 s45, s38, s43
	s_mul_i32 s44, s38, s43
	s_mul_hi_u32 s2, s38, s42
	s_mul_i32 s27, s39, s42
	s_add_nc_u64 s[44:45], s[2:3], s[44:45]
	s_mul_hi_u32 s0, s39, s42
	s_mul_hi_u32 s29, s39, s43
	s_add_co_u32 s2, s44, s27
	s_add_co_ci_u32 s2, s45, s0
	s_mul_i32 s42, s39, s43
	s_add_co_ci_u32 s43, s29, 0
	s_delay_alu instid0(SALU_CYCLE_1) | instskip(NEXT) | instid1(SALU_CYCLE_1)
	s_add_nc_u64 s[42:43], s[2:3], s[42:43]
	s_add_co_u32 s38, s38, s42
	s_cselect_b32 s0, -1, 0
	s_delay_alu instid0(SALU_CYCLE_1) | instskip(SKIP_1) | instid1(SALU_CYCLE_1)
	s_cmp_lg_u32 s0, 0
	s_add_co_ci_u32 s39, s39, s43
	s_mul_u64 s[40:41], s[40:41], s[38:39]
	s_delay_alu instid0(SALU_CYCLE_1)
	s_mul_hi_u32 s43, s38, s41
	s_mul_i32 s42, s38, s41
	s_mul_hi_u32 s2, s38, s40
	s_mul_i32 s27, s39, s40
	s_add_nc_u64 s[42:43], s[2:3], s[42:43]
	s_mul_hi_u32 s0, s39, s40
	s_mul_hi_u32 s29, s39, s41
	s_add_co_u32 s2, s42, s27
	s_add_co_ci_u32 s2, s43, s0
	s_mul_i32 s40, s39, s41
	s_add_co_ci_u32 s41, s29, 0
	s_delay_alu instid0(SALU_CYCLE_1) | instskip(NEXT) | instid1(SALU_CYCLE_1)
	s_add_nc_u64 s[40:41], s[2:3], s[40:41]
	s_add_co_u32 s0, s38, s40
	s_cselect_b32 s2, -1, 0
	v_mul_hi_u32 v28, v20, s0
	s_cmp_lg_u32 s2, 0
	s_add_co_ci_u32 s2, s39, s41
	s_and_b64 s[38:39], s[0:1], s[22:23]
	v_mul_u64_e32 v[22:23], s[2:3], v[20:21]
	v_mul_u64_e32 v[18:19], s[38:39], v[24:25]
	v_mul_u64_e32 v[26:27], s[2:3], v[24:25]
	s_delay_alu instid0(VALU_DEP_3) | instskip(NEXT) | instid1(VALU_DEP_1)
	v_add_nc_u64_e32 v[22:23], v[28:29], v[22:23]
	v_add_co_u32 v3, vcc_lo, v22, v18
	s_delay_alu instid0(VALU_DEP_2) | instskip(NEXT) | instid1(VALU_DEP_4)
	v_add_co_ci_u32_e32 v28, vcc_lo, v23, v19, vcc_lo
	v_add_co_ci_u32_e32 v27, vcc_lo, 0, v27, vcc_lo
	s_delay_alu instid0(VALU_DEP_1) | instskip(NEXT) | instid1(VALU_DEP_1)
	v_add_nc_u64_e32 v[18:19], v[28:29], v[26:27]
	v_mul_u64_e32 v[22:23], s[30:31], v[18:19]
	s_delay_alu instid0(VALU_DEP_1) | instskip(NEXT) | instid1(VALU_DEP_2)
	v_sub_nc_u32_e32 v3, v24, v23
	v_sub_co_u32 v13, vcc_lo, v20, v22
	s_delay_alu instid0(VALU_DEP_1) | instskip(NEXT) | instid1(VALU_DEP_3)
	v_sub_co_ci_u32_e64 v17, null, v24, v23, vcc_lo
	v_subrev_co_ci_u32_e64 v3, null, s31, v3, vcc_lo
	s_delay_alu instid0(VALU_DEP_3) | instskip(SKIP_1) | instid1(VALU_DEP_3)
	v_sub_co_u32 v15, s0, v13, s30
	v_add_nc_u64_e32 v[22:23], 1, v[18:19]
	v_subrev_co_ci_u32_e64 v3, null, 0, v3, s0
	s_delay_alu instid0(VALU_DEP_3) | instskip(SKIP_1) | instid1(VALU_DEP_3)
	v_cmp_le_u32_e32 vcc_lo, s30, v15
	v_cndmask_b32_e64 v15, 0, -1, vcc_lo
	v_cmp_le_u32_e32 vcc_lo, s31, v3
	v_cndmask_b32_e64 v20, 0, -1, vcc_lo
	;; [unrolled: 2-line block ×4, first 2 shown]
	v_cmp_eq_u32_e32 vcc_lo, s31, v3
	v_cndmask_b32_e32 v3, v20, v15, vcc_lo
	v_cmp_eq_u32_e32 vcc_lo, s31, v17
	v_add_nc_u64_e32 v[20:21], 2, v[18:19]
	v_dual_mov_b32 v15, v14 :: v_dual_cndmask_b32 v13, v24, v13, vcc_lo
	s_delay_alu instid0(VALU_DEP_4) | instskip(NEXT) | instid1(VALU_DEP_2)
	v_cmp_ne_u32_e32 vcc_lo, 0, v3
	v_cmp_ne_u32_e64 s0, 0, v13
	s_delay_alu instid0(VALU_DEP_4) | instskip(NEXT) | instid1(VALU_DEP_1)
	v_dual_cndmask_b32 v3, v23, v21, vcc_lo :: v_dual_cndmask_b32 v13, v22, v20, vcc_lo
	v_dual_cndmask_b32 v3, v19, v3, s0 :: v_dual_cndmask_b32 v13, v18, v13, s0
	s_delay_alu instid0(VALU_DEP_1) | instskip(NEXT) | instid1(VALU_DEP_2)
	v_xor_b32_e32 v19, v3, v14
	v_xor_b32_e32 v18, v13, v14
	s_delay_alu instid0(VALU_DEP_1)
	v_sub_nc_u64_e32 v[14:15], v[18:19], v[14:15]
.LBB1_13:                               ;   in Loop: Header=BB1_2 Depth=1
	s_and_not1_saveexec_b32 s0, s25
	s_cbranch_execz .LBB1_15
; %bb.14:                               ;   in Loop: Header=BB1_2 Depth=1
	v_cvt_f32_u32_e32 v3, s10
	s_sub_co_i32 s2, 0, s10
	s_delay_alu instid0(VALU_DEP_1) | instskip(SKIP_1) | instid1(TRANS32_DEP_1)
	v_rcp_iflag_f32_e32 v3, v3
	v_nop
	v_mul_f32_e32 v3, 0x4f7ffffe, v3
	s_delay_alu instid0(VALU_DEP_1) | instskip(NEXT) | instid1(VALU_DEP_1)
	v_cvt_u32_f32_e32 v3, v3
	v_mul_lo_u32 v13, s2, v3
	s_delay_alu instid0(VALU_DEP_1) | instskip(NEXT) | instid1(VALU_DEP_1)
	v_mul_hi_u32 v13, v3, v13
	v_add_nc_u32_e32 v3, v3, v13
	s_delay_alu instid0(VALU_DEP_1) | instskip(NEXT) | instid1(VALU_DEP_1)
	v_mul_hi_u32 v3, v12, v3
	v_mul_lo_u32 v13, v3, s10
	s_delay_alu instid0(VALU_DEP_1) | instskip(NEXT) | instid1(VALU_DEP_1)
	v_dual_add_nc_u32 v14, 1, v3 :: v_dual_sub_nc_u32 v13, v12, v13
	v_subrev_nc_u32_e32 v15, s10, v13
	v_cmp_le_u32_e32 vcc_lo, s10, v13
	s_delay_alu instid0(VALU_DEP_2) | instskip(NEXT) | instid1(VALU_DEP_1)
	v_dual_cndmask_b32 v13, v13, v15, vcc_lo :: v_dual_cndmask_b32 v3, v3, v14, vcc_lo
	v_cmp_le_u32_e32 vcc_lo, s10, v13
	s_delay_alu instid0(VALU_DEP_2) | instskip(NEXT) | instid1(VALU_DEP_1)
	v_add_nc_u32_e32 v14, 1, v3
	v_cndmask_b32_e32 v14, v3, v14, vcc_lo
.LBB1_15:                               ;   in Loop: Header=BB1_2 Depth=1
	s_or_b32 exec_lo, exec_lo, s0
	v_add_nc_u64_e32 v[10:11], s[6:7], v[10:11]
	v_add_nc_u64_e32 v[0:1], s[18:19], v[0:1]
	;; [unrolled: 1-line block ×3, first 2 shown]
	s_and_not1_b32 s0, s35, exec_lo
	s_and_not1_b32 s34, s34, exec_lo
	global_load_u8 v3, v[10:11], off
	s_wait_xcnt 0x0
	v_mul_lo_u32 v10, v14, s10
	v_cmp_le_i64_e32 vcc_lo, s[4:5], v[0:1]
	s_and_b32 s2, vcc_lo, exec_lo
	s_delay_alu instid0(SALU_CYCLE_1) | instskip(NEXT) | instid1(VALU_DEP_2)
	s_or_b32 s35, s0, s2
	v_sub_nc_u32_e32 v10, v12, v10
	v_ashrrev_i32_e32 v12, 31, v14
	s_delay_alu instid0(VALU_DEP_2) | instskip(NEXT) | instid1(VALU_DEP_1)
	v_ashrrev_i32_e32 v11, 31, v10
	v_mad_nc_u64_u32 v[10:11], v14, s10, v[10:11]
	s_delay_alu instid0(VALU_DEP_1) | instskip(NEXT) | instid1(VALU_DEP_2)
	v_mad_u32 v11, v12, s10, v11
	v_mad_nc_u64_u32 v[4:5], s16, v10, v[4:5]
	s_delay_alu instid0(VALU_DEP_2) | instskip(NEXT) | instid1(VALU_DEP_2)
	v_mad_u32 v11, v14, s11, v11
	v_mad_u32 v5, s17, v10, v5
	s_delay_alu instid0(VALU_DEP_1) | instskip(NEXT) | instid1(VALU_DEP_1)
	v_mad_u32 v5, s16, v11, v5
	v_add_nc_u64_e32 v[8:9], v[4:5], v[8:9]
	s_wait_loadcnt 0x0
	global_store_b8 v[8:9], v3, off
.LBB1_16:                               ;   in Loop: Header=BB1_2 Depth=1
	s_wait_xcnt 0x0
	s_or_b32 exec_lo, exec_lo, s36
	s_delay_alu instid0(SALU_CYCLE_1) | instskip(NEXT) | instid1(SALU_CYCLE_1)
	s_and_b32 s0, exec_lo, s35
	s_or_b32 s1, s0, s1
	s_and_not1_b32 s0, s33, exec_lo
	s_and_b32 s2, s34, exec_lo
	s_delay_alu instid0(SALU_CYCLE_1)
	s_or_b32 s33, s0, s2
	s_and_not1_b32 exec_lo, exec_lo, s1
	s_cbranch_execnz .LBB1_2
; %bb.17:
	s_or_b32 exec_lo, exec_lo, s1
	s_and_saveexec_b32 s0, s33
	s_delay_alu instid0(SALU_CYCLE_1)
	s_xor_b32 s0, exec_lo, s0
	s_cbranch_execnz .LBB1_19
.LBB1_18:
	s_endpgm
.LBB1_19:
	s_trap 2
	; divergent unreachable
	s_endpgm
	.section	.rodata,"a",@progbits
	.p2align	6, 0x0
	.amdhsa_kernel _ZN2at6native30max_unpooling2d_forward_kernelIaEEvlPKT_PKllllllPS2_
		.amdhsa_group_segment_fixed_size 0
		.amdhsa_private_segment_fixed_size 0
		.amdhsa_kernarg_size 328
		.amdhsa_user_sgpr_count 2
		.amdhsa_user_sgpr_dispatch_ptr 0
		.amdhsa_user_sgpr_queue_ptr 0
		.amdhsa_user_sgpr_kernarg_segment_ptr 1
		.amdhsa_user_sgpr_dispatch_id 0
		.amdhsa_user_sgpr_kernarg_preload_length 0
		.amdhsa_user_sgpr_kernarg_preload_offset 0
		.amdhsa_user_sgpr_private_segment_size 0
		.amdhsa_wavefront_size32 1
		.amdhsa_uses_dynamic_stack 0
		.amdhsa_enable_private_segment 0
		.amdhsa_system_sgpr_workgroup_id_x 1
		.amdhsa_system_sgpr_workgroup_id_y 0
		.amdhsa_system_sgpr_workgroup_id_z 0
		.amdhsa_system_sgpr_workgroup_info 0
		.amdhsa_system_vgpr_workitem_id 0
		.amdhsa_next_free_vgpr 30
		.amdhsa_next_free_sgpr 46
		.amdhsa_named_barrier_count 0
		.amdhsa_reserve_vcc 1
		.amdhsa_float_round_mode_32 0
		.amdhsa_float_round_mode_16_64 0
		.amdhsa_float_denorm_mode_32 3
		.amdhsa_float_denorm_mode_16_64 3
		.amdhsa_fp16_overflow 0
		.amdhsa_memory_ordered 1
		.amdhsa_forward_progress 1
		.amdhsa_inst_pref_size 22
		.amdhsa_round_robin_scheduling 0
		.amdhsa_exception_fp_ieee_invalid_op 0
		.amdhsa_exception_fp_denorm_src 0
		.amdhsa_exception_fp_ieee_div_zero 0
		.amdhsa_exception_fp_ieee_overflow 0
		.amdhsa_exception_fp_ieee_underflow 0
		.amdhsa_exception_fp_ieee_inexact 0
		.amdhsa_exception_int_div_zero 0
	.end_amdhsa_kernel
	.section	.text._ZN2at6native30max_unpooling2d_forward_kernelIaEEvlPKT_PKllllllPS2_,"axG",@progbits,_ZN2at6native30max_unpooling2d_forward_kernelIaEEvlPKT_PKllllllPS2_,comdat
.Lfunc_end1:
	.size	_ZN2at6native30max_unpooling2d_forward_kernelIaEEvlPKT_PKllllllPS2_, .Lfunc_end1-_ZN2at6native30max_unpooling2d_forward_kernelIaEEvlPKT_PKllllllPS2_
                                        ; -- End function
	.set _ZN2at6native30max_unpooling2d_forward_kernelIaEEvlPKT_PKllllllPS2_.num_vgpr, 30
	.set _ZN2at6native30max_unpooling2d_forward_kernelIaEEvlPKT_PKllllllPS2_.num_agpr, 0
	.set _ZN2at6native30max_unpooling2d_forward_kernelIaEEvlPKT_PKllllllPS2_.numbered_sgpr, 46
	.set _ZN2at6native30max_unpooling2d_forward_kernelIaEEvlPKT_PKllllllPS2_.num_named_barrier, 0
	.set _ZN2at6native30max_unpooling2d_forward_kernelIaEEvlPKT_PKllllllPS2_.private_seg_size, 0
	.set _ZN2at6native30max_unpooling2d_forward_kernelIaEEvlPKT_PKllllllPS2_.uses_vcc, 1
	.set _ZN2at6native30max_unpooling2d_forward_kernelIaEEvlPKT_PKllllllPS2_.uses_flat_scratch, 0
	.set _ZN2at6native30max_unpooling2d_forward_kernelIaEEvlPKT_PKllllllPS2_.has_dyn_sized_stack, 0
	.set _ZN2at6native30max_unpooling2d_forward_kernelIaEEvlPKT_PKllllllPS2_.has_recursion, 0
	.set _ZN2at6native30max_unpooling2d_forward_kernelIaEEvlPKT_PKllllllPS2_.has_indirect_call, 0
	.section	.AMDGPU.csdata,"",@progbits
; Kernel info:
; codeLenInByte = 2704
; TotalNumSgprs: 48
; NumVgprs: 30
; ScratchSize: 0
; MemoryBound: 0
; FloatMode: 240
; IeeeMode: 1
; LDSByteSize: 0 bytes/workgroup (compile time only)
; SGPRBlocks: 0
; VGPRBlocks: 1
; NumSGPRsForWavesPerEU: 48
; NumVGPRsForWavesPerEU: 30
; NamedBarCnt: 0
; Occupancy: 16
; WaveLimiterHint : 1
; COMPUTE_PGM_RSRC2:SCRATCH_EN: 0
; COMPUTE_PGM_RSRC2:USER_SGPR: 2
; COMPUTE_PGM_RSRC2:TRAP_HANDLER: 0
; COMPUTE_PGM_RSRC2:TGID_X_EN: 1
; COMPUTE_PGM_RSRC2:TGID_Y_EN: 0
; COMPUTE_PGM_RSRC2:TGID_Z_EN: 0
; COMPUTE_PGM_RSRC2:TIDIG_COMP_CNT: 0
	.section	.text._ZN2at6native30max_unpooling2d_forward_kernelIiEEvlPKT_PKllllllPS2_,"axG",@progbits,_ZN2at6native30max_unpooling2d_forward_kernelIiEEvlPKT_PKllllllPS2_,comdat
	.protected	_ZN2at6native30max_unpooling2d_forward_kernelIiEEvlPKT_PKllllllPS2_ ; -- Begin function _ZN2at6native30max_unpooling2d_forward_kernelIiEEvlPKT_PKllllllPS2_
	.globl	_ZN2at6native30max_unpooling2d_forward_kernelIiEEvlPKT_PKllllllPS2_
	.p2align	8
	.type	_ZN2at6native30max_unpooling2d_forward_kernelIiEEvlPKT_PKllllllPS2_,@function
_ZN2at6native30max_unpooling2d_forward_kernelIiEEvlPKT_PKllllllPS2_: ; @_ZN2at6native30max_unpooling2d_forward_kernelIiEEvlPKT_PKllllllPS2_
; %bb.0:
	s_load_b32 s2, s[0:1], 0x54
	s_bfe_u32 s4, ttmp6, 0x4000c
	v_mov_b32_e32 v2, 0
	s_add_co_i32 s21, s4, 1
	s_load_b512 s[4:19], s[0:1], 0x0
	s_and_b32 s3, ttmp6, 15
	s_mul_i32 s21, ttmp9, s21
	s_getreg_b32 s20, hwreg(HW_REG_IB_STS2, 6, 4)
	v_mov_b32_e32 v1, v2
	s_add_co_i32 s3, s3, s21
	s_wait_kmcnt 0x0
	s_and_b32 s2, s2, 0xffff
	s_cmp_eq_u32 s20, 0
	s_mov_b32 s20, exec_lo
	s_cselect_b32 s3, ttmp9, s3
	s_delay_alu instid0(SALU_CYCLE_1) | instskip(SKIP_1) | instid1(VALU_DEP_1)
	v_mad_nc_u64_u32 v[0:1], s2, s3, v[0:1]
	s_mov_b32 s3, 0
	v_cmpx_gt_i64_e64 s[4:5], v[0:1]
	s_cbranch_execz .LBB2_18
; %bb.1:
	v_cvt_f32_u32_e32 v3, s14
	s_sub_co_i32 s22, 0, s14
	s_add_nc_u64 s[20:21], s[0:1], 0x48
	s_load_b64 s[0:1], s[0:1], 0x40
	s_mul_u64 s[16:17], s[18:19], s[16:17]
	v_rcp_iflag_f32_e32 v3, v3
	s_load_b32 s21, s[20:21], 0x0
	s_mov_b32 s19, s3
	s_wait_xcnt 0x0
	s_mov_b32 s20, s3
	s_ashr_i32 s24, s15, 31
	s_ashr_i32 s26, s13, 31
                                        ; implicit-def: $sgpr33
                                        ; implicit-def: $sgpr35
                                        ; implicit-def: $sgpr34
	v_nop
	v_mul_f32_e32 v3, 0x4f7ffffe, v3
	s_delay_alu instid0(VALU_DEP_1) | instskip(NEXT) | instid1(VALU_DEP_1)
	v_cvt_u32_f32_e32 v6, v3
	v_mul_lo_u32 v3, s22, v6
	s_wait_kmcnt 0x0
	v_mov_b64_e32 v[4:5], s[0:1]
	s_mov_b64 s[22:23], 0xffffffff
	s_mov_b32 s1, 0
	s_mul_i32 s18, s21, s2
	s_delay_alu instid0(SALU_CYCLE_1) | instskip(NEXT) | instid1(VALU_DEP_2)
	s_mov_b32 s21, s18
	v_mul_hi_u32 v7, v6, v3
	s_delay_alu instid0(VALU_DEP_1) | instskip(NEXT) | instid1(VALU_DEP_1)
	v_dual_mov_b32 v3, v0 :: v_dual_add_nc_u32 v16, v6, v7
	v_mov_b64_e32 v[6:7], v[2:3]
.LBB2_2:                                ; =>This Inner Loop Header: Depth=1
	s_delay_alu instid0(VALU_DEP_1) | instskip(SKIP_2) | instid1(VALU_DEP_1)
	v_ashrrev_i64 v[8:9], 29, v[6:7]
	s_or_b32 s34, s34, exec_lo
	s_or_b32 s35, s35, exec_lo
	v_add_nc_u64_e32 v[8:9], s[8:9], v[8:9]
	global_load_b64 v[8:9], v[8:9], off
	s_wait_loadcnt 0x0
	s_wait_xcnt 0x0
	v_ashrrev_i32_e32 v9, 31, v8
	v_cmp_lt_i32_e64 s0, -1, v8
	s_delay_alu instid0(VALU_DEP_2) | instskip(SKIP_1) | instid1(SALU_CYCLE_1)
	v_cmp_gt_i64_e32 vcc_lo, s[16:17], v[8:9]
	s_and_b32 s0, s0, vcc_lo
	s_and_saveexec_b32 s36, s0
	s_cbranch_execz .LBB2_16
; %bb.3:                                ;   in Loop: Header=BB2_2 Depth=1
	v_dual_mov_b32 v10, v7 :: v_dual_ashrrev_i32 v11, 31, v7
                                        ; implicit-def: $vgpr14_vgpr15
	s_mov_b32 s0, exec_lo
	s_delay_alu instid0(VALU_DEP_1) | instskip(NEXT) | instid1(VALU_DEP_1)
	v_or_b32_e32 v3, s15, v11
	v_cmpx_ne_u64_e32 0, v[2:3]
	s_xor_b32 s27, exec_lo, s0
	s_cbranch_execz .LBB2_5
; %bb.4:                                ;   in Loop: Header=BB2_2 Depth=1
	s_mov_b32 s25, s24
	v_dual_mov_b32 v19, v2 :: v_dual_ashrrev_i32 v12, 31, v11
	s_add_nc_u64 s[28:29], s[14:15], s[24:25]
	v_mov_b32_e32 v27, v2
	s_xor_b64 s[28:29], s[28:29], s[24:25]
	s_delay_alu instid0(VALU_DEP_2) | instskip(SKIP_3) | instid1(VALU_DEP_1)
	v_mov_b32_e32 v13, v12
	s_cvt_f32_u32 s0, s28
	s_cvt_f32_u32 s2, s29
	s_sub_nc_u64 s[38:39], 0, s[28:29]
	v_add_nc_u64_e32 v[14:15], v[10:11], v[12:13]
	s_delay_alu instid0(SALU_CYCLE_1) | instskip(SKIP_1) | instid1(SALU_CYCLE_2)
	s_fmamk_f32 s0, s2, 0x4f800000, s0
	v_mov_b32_e32 v23, v2
	v_s_rcp_f32 s0, s0
	s_delay_alu instid0(VALU_DEP_2) | instskip(NEXT) | instid1(VALU_DEP_3)
	v_xor_b32_e32 v18, v14, v12
	v_xor_b32_e32 v22, v15, v12
	;; [unrolled: 1-line block ×3, first 2 shown]
	s_delay_alu instid0(TRANS32_DEP_1) | instskip(NEXT) | instid1(SALU_CYCLE_3)
	s_mul_f32 s0, s0, 0x5f7ffffc
	s_mul_f32 s2, s0, 0x2f800000
	s_delay_alu instid0(SALU_CYCLE_3) | instskip(NEXT) | instid1(SALU_CYCLE_3)
	s_trunc_f32 s2, s2
	s_fmamk_f32 s0, s2, 0xcf800000, s0
	s_cvt_u32_f32 s31, s2
	s_delay_alu instid0(SALU_CYCLE_2) | instskip(NEXT) | instid1(SALU_CYCLE_3)
	s_cvt_u32_f32 s30, s0
	s_mul_u64 s[40:41], s[38:39], s[30:31]
	s_delay_alu instid0(SALU_CYCLE_1)
	s_mul_hi_u32 s43, s30, s41
	s_mul_i32 s42, s30, s41
	s_mul_hi_u32 s2, s30, s40
	s_mul_i32 s25, s31, s40
	s_add_nc_u64 s[42:43], s[2:3], s[42:43]
	s_mul_hi_u32 s0, s31, s40
	s_mul_hi_u32 s37, s31, s41
	s_add_co_u32 s2, s42, s25
	s_add_co_ci_u32 s2, s43, s0
	s_mul_i32 s40, s31, s41
	s_add_co_ci_u32 s41, s37, 0
	s_delay_alu instid0(SALU_CYCLE_1) | instskip(NEXT) | instid1(SALU_CYCLE_1)
	s_add_nc_u64 s[40:41], s[2:3], s[40:41]
	s_add_co_u32 s30, s30, s40
	s_cselect_b32 s0, -1, 0
	s_delay_alu instid0(SALU_CYCLE_1) | instskip(SKIP_1) | instid1(SALU_CYCLE_1)
	s_cmp_lg_u32 s0, 0
	s_add_co_ci_u32 s31, s31, s41
	s_mul_u64 s[38:39], s[38:39], s[30:31]
	s_delay_alu instid0(SALU_CYCLE_1)
	s_mul_hi_u32 s41, s30, s39
	s_mul_i32 s40, s30, s39
	s_mul_hi_u32 s2, s30, s38
	s_mul_i32 s25, s31, s38
	s_add_nc_u64 s[40:41], s[2:3], s[40:41]
	s_mul_hi_u32 s0, s31, s38
	s_mul_hi_u32 s37, s31, s39
	s_add_co_u32 s2, s40, s25
	s_add_co_ci_u32 s2, s41, s0
	s_mul_i32 s38, s31, s39
	s_add_co_ci_u32 s39, s37, 0
	s_delay_alu instid0(SALU_CYCLE_1) | instskip(NEXT) | instid1(SALU_CYCLE_1)
	s_add_nc_u64 s[38:39], s[2:3], s[38:39]
	s_add_co_u32 s0, s30, s38
	s_cselect_b32 s2, -1, 0
	v_mul_hi_u32 v26, v18, s0
	s_cmp_lg_u32 s2, 0
	s_add_co_ci_u32 s2, s31, s39
	s_and_b64 s[30:31], s[0:1], s[22:23]
	v_mul_u64_e32 v[20:21], s[2:3], v[18:19]
	v_mul_u64_e32 v[14:15], s[30:31], v[22:23]
	;; [unrolled: 1-line block ×3, first 2 shown]
	s_delay_alu instid0(VALU_DEP_3) | instskip(NEXT) | instid1(VALU_DEP_1)
	v_add_nc_u64_e32 v[20:21], v[26:27], v[20:21]
	v_add_co_u32 v3, vcc_lo, v20, v14
	s_delay_alu instid0(VALU_DEP_2) | instskip(NEXT) | instid1(VALU_DEP_4)
	v_add_co_ci_u32_e32 v26, vcc_lo, v21, v15, vcc_lo
	v_add_co_ci_u32_e32 v25, vcc_lo, 0, v25, vcc_lo
	s_delay_alu instid0(VALU_DEP_1) | instskip(NEXT) | instid1(VALU_DEP_1)
	v_add_nc_u64_e32 v[14:15], v[26:27], v[24:25]
	v_mul_u64_e32 v[20:21], s[28:29], v[14:15]
	s_delay_alu instid0(VALU_DEP_1) | instskip(NEXT) | instid1(VALU_DEP_2)
	v_sub_nc_u32_e32 v3, v22, v21
	v_sub_co_u32 v13, vcc_lo, v18, v20
	s_delay_alu instid0(VALU_DEP_1) | instskip(NEXT) | instid1(VALU_DEP_3)
	v_sub_co_ci_u32_e64 v22, null, v22, v21, vcc_lo
	v_subrev_co_ci_u32_e64 v3, null, s29, v3, vcc_lo
	s_delay_alu instid0(VALU_DEP_3) | instskip(SKIP_1) | instid1(VALU_DEP_3)
	v_sub_co_u32 v17, s0, v13, s28
	v_add_nc_u64_e32 v[20:21], 1, v[14:15]
	v_subrev_co_ci_u32_e64 v3, null, 0, v3, s0
	s_delay_alu instid0(VALU_DEP_3) | instskip(SKIP_1) | instid1(VALU_DEP_3)
	v_cmp_le_u32_e32 vcc_lo, s28, v17
	v_cndmask_b32_e64 v17, 0, -1, vcc_lo
	v_cmp_le_u32_e32 vcc_lo, s29, v3
	v_cndmask_b32_e64 v18, 0, -1, vcc_lo
	;; [unrolled: 2-line block ×4, first 2 shown]
	v_cmp_eq_u32_e32 vcc_lo, s29, v3
	v_cndmask_b32_e32 v3, v18, v17, vcc_lo
	v_cmp_eq_u32_e32 vcc_lo, s29, v22
	v_add_nc_u64_e32 v[18:19], 2, v[14:15]
	v_cndmask_b32_e32 v13, v23, v13, vcc_lo
	s_delay_alu instid0(VALU_DEP_4) | instskip(NEXT) | instid1(VALU_DEP_2)
	v_cmp_ne_u32_e32 vcc_lo, 0, v3
	v_cmp_ne_u32_e64 s0, 0, v13
	s_delay_alu instid0(VALU_DEP_4) | instskip(NEXT) | instid1(VALU_DEP_1)
	v_dual_cndmask_b32 v13, v20, v18, vcc_lo :: v_dual_cndmask_b32 v3, v21, v19, vcc_lo
	v_dual_cndmask_b32 v14, v14, v13, s0 :: v_dual_cndmask_b32 v3, v15, v3, s0
	s_delay_alu instid0(VALU_DEP_1) | instskip(NEXT) | instid1(VALU_DEP_2)
	v_dual_mov_b32 v13, v12 :: v_dual_bitop2_b32 v14, v14, v12 bitop3:0x14
	v_xor_b32_e32 v15, v3, v12
	s_delay_alu instid0(VALU_DEP_1)
	v_sub_nc_u64_e32 v[14:15], v[14:15], v[12:13]
.LBB2_5:                                ;   in Loop: Header=BB2_2 Depth=1
	s_and_not1_saveexec_b32 s0, s27
	s_cbranch_execz .LBB2_7
; %bb.6:                                ;   in Loop: Header=BB2_2 Depth=1
	v_mul_hi_u32 v3, v7, v16
	v_mov_b32_e32 v15, v2
	s_delay_alu instid0(VALU_DEP_2) | instskip(NEXT) | instid1(VALU_DEP_1)
	v_mul_lo_u32 v12, v3, s14
	v_dual_add_nc_u32 v13, 1, v3 :: v_dual_sub_nc_u32 v12, v7, v12
	s_delay_alu instid0(VALU_DEP_1) | instskip(SKIP_1) | instid1(VALU_DEP_2)
	v_subrev_nc_u32_e32 v14, s14, v12
	v_cmp_le_u32_e32 vcc_lo, s14, v12
	v_dual_cndmask_b32 v12, v12, v14 :: v_dual_cndmask_b32 v3, v3, v13
	s_delay_alu instid0(VALU_DEP_1) | instskip(NEXT) | instid1(VALU_DEP_2)
	v_cmp_le_u32_e32 vcc_lo, s14, v12
	v_add_nc_u32_e32 v13, 1, v3
	s_delay_alu instid0(VALU_DEP_1)
	v_cndmask_b32_e32 v14, v3, v13, vcc_lo
.LBB2_7:                                ;   in Loop: Header=BB2_2 Depth=1
	s_or_b32 exec_lo, exec_lo, s0
	s_delay_alu instid0(VALU_DEP_1) | instskip(SKIP_1) | instid1(VALU_DEP_1)
	v_or_b32_e32 v3, s13, v15
                                        ; implicit-def: $vgpr12_vgpr13
	s_mov_b32 s0, exec_lo
	v_cmpx_ne_u64_e32 0, v[2:3]
	s_xor_b32 s25, exec_lo, s0
	s_cbranch_execz .LBB2_9
; %bb.8:                                ;   in Loop: Header=BB2_2 Depth=1
	s_mov_b32 s27, s26
	v_dual_mov_b32 v19, v2 :: v_dual_ashrrev_i32 v12, 31, v15
	s_add_nc_u64 s[28:29], s[12:13], s[26:27]
	v_mov_b32_e32 v27, v2
	s_xor_b64 s[28:29], s[28:29], s[26:27]
	s_delay_alu instid0(VALU_DEP_2) | instskip(SKIP_3) | instid1(VALU_DEP_1)
	v_mov_b32_e32 v13, v12
	s_cvt_f32_u32 s0, s28
	s_cvt_f32_u32 s2, s29
	s_sub_nc_u64 s[38:39], 0, s[28:29]
	v_add_nc_u64_e32 v[14:15], v[14:15], v[12:13]
	s_delay_alu instid0(SALU_CYCLE_1) | instskip(SKIP_1) | instid1(SALU_CYCLE_2)
	s_fmamk_f32 s0, s2, 0x4f800000, s0
	v_mov_b32_e32 v23, v2
	v_s_rcp_f32 s0, s0
	s_delay_alu instid0(VALU_DEP_2) | instskip(NEXT) | instid1(VALU_DEP_3)
	v_xor_b32_e32 v18, v14, v12
	v_xor_b32_e32 v22, v15, v12
	;; [unrolled: 1-line block ×3, first 2 shown]
	s_delay_alu instid0(TRANS32_DEP_1) | instskip(NEXT) | instid1(SALU_CYCLE_3)
	s_mul_f32 s0, s0, 0x5f7ffffc
	s_mul_f32 s2, s0, 0x2f800000
	s_delay_alu instid0(SALU_CYCLE_3) | instskip(NEXT) | instid1(SALU_CYCLE_3)
	s_trunc_f32 s2, s2
	s_fmamk_f32 s0, s2, 0xcf800000, s0
	s_cvt_u32_f32 s31, s2
	s_delay_alu instid0(SALU_CYCLE_2) | instskip(NEXT) | instid1(SALU_CYCLE_3)
	s_cvt_u32_f32 s30, s0
	s_mul_u64 s[40:41], s[38:39], s[30:31]
	s_delay_alu instid0(SALU_CYCLE_1)
	s_mul_hi_u32 s43, s30, s41
	s_mul_i32 s42, s30, s41
	s_mul_hi_u32 s2, s30, s40
	s_mul_i32 s27, s31, s40
	s_add_nc_u64 s[42:43], s[2:3], s[42:43]
	s_mul_hi_u32 s0, s31, s40
	s_mul_hi_u32 s37, s31, s41
	s_add_co_u32 s2, s42, s27
	s_add_co_ci_u32 s2, s43, s0
	s_mul_i32 s40, s31, s41
	s_add_co_ci_u32 s41, s37, 0
	s_delay_alu instid0(SALU_CYCLE_1) | instskip(NEXT) | instid1(SALU_CYCLE_1)
	s_add_nc_u64 s[40:41], s[2:3], s[40:41]
	s_add_co_u32 s30, s30, s40
	s_cselect_b32 s0, -1, 0
	s_delay_alu instid0(SALU_CYCLE_1) | instskip(SKIP_1) | instid1(SALU_CYCLE_1)
	s_cmp_lg_u32 s0, 0
	s_add_co_ci_u32 s31, s31, s41
	s_mul_u64 s[38:39], s[38:39], s[30:31]
	s_delay_alu instid0(SALU_CYCLE_1)
	s_mul_hi_u32 s41, s30, s39
	s_mul_i32 s40, s30, s39
	s_mul_hi_u32 s2, s30, s38
	s_mul_i32 s27, s31, s38
	s_add_nc_u64 s[40:41], s[2:3], s[40:41]
	s_mul_hi_u32 s0, s31, s38
	s_mul_hi_u32 s37, s31, s39
	s_add_co_u32 s2, s40, s27
	s_add_co_ci_u32 s2, s41, s0
	s_mul_i32 s38, s31, s39
	s_add_co_ci_u32 s39, s37, 0
	s_delay_alu instid0(SALU_CYCLE_1) | instskip(NEXT) | instid1(SALU_CYCLE_1)
	s_add_nc_u64 s[38:39], s[2:3], s[38:39]
	s_add_co_u32 s0, s30, s38
	s_cselect_b32 s2, -1, 0
	v_mul_hi_u32 v26, v18, s0
	s_cmp_lg_u32 s2, 0
	s_add_co_ci_u32 s2, s31, s39
	s_and_b64 s[30:31], s[0:1], s[22:23]
	v_mul_u64_e32 v[20:21], s[2:3], v[18:19]
	v_mul_u64_e32 v[14:15], s[30:31], v[22:23]
	;; [unrolled: 1-line block ×3, first 2 shown]
	s_delay_alu instid0(VALU_DEP_3) | instskip(NEXT) | instid1(VALU_DEP_1)
	v_add_nc_u64_e32 v[20:21], v[26:27], v[20:21]
	v_add_co_u32 v3, vcc_lo, v20, v14
	s_delay_alu instid0(VALU_DEP_2) | instskip(NEXT) | instid1(VALU_DEP_4)
	v_add_co_ci_u32_e32 v26, vcc_lo, v21, v15, vcc_lo
	v_add_co_ci_u32_e32 v25, vcc_lo, 0, v25, vcc_lo
	s_delay_alu instid0(VALU_DEP_1) | instskip(NEXT) | instid1(VALU_DEP_1)
	v_add_nc_u64_e32 v[14:15], v[26:27], v[24:25]
	v_mul_u64_e32 v[20:21], s[28:29], v[14:15]
	s_delay_alu instid0(VALU_DEP_1) | instskip(NEXT) | instid1(VALU_DEP_2)
	v_sub_nc_u32_e32 v3, v22, v21
	v_sub_co_u32 v13, vcc_lo, v18, v20
	s_delay_alu instid0(VALU_DEP_1) | instskip(NEXT) | instid1(VALU_DEP_3)
	v_sub_co_ci_u32_e64 v22, null, v22, v21, vcc_lo
	v_subrev_co_ci_u32_e64 v3, null, s29, v3, vcc_lo
	s_delay_alu instid0(VALU_DEP_3) | instskip(SKIP_1) | instid1(VALU_DEP_3)
	v_sub_co_u32 v17, s0, v13, s28
	v_add_nc_u64_e32 v[20:21], 1, v[14:15]
	v_subrev_co_ci_u32_e64 v3, null, 0, v3, s0
	s_delay_alu instid0(VALU_DEP_3) | instskip(SKIP_1) | instid1(VALU_DEP_3)
	v_cmp_le_u32_e32 vcc_lo, s28, v17
	v_cndmask_b32_e64 v17, 0, -1, vcc_lo
	v_cmp_le_u32_e32 vcc_lo, s29, v3
	v_cndmask_b32_e64 v18, 0, -1, vcc_lo
	;; [unrolled: 2-line block ×4, first 2 shown]
	v_cmp_eq_u32_e32 vcc_lo, s29, v3
	v_cndmask_b32_e32 v3, v18, v17, vcc_lo
	v_cmp_eq_u32_e32 vcc_lo, s29, v22
	v_add_nc_u64_e32 v[18:19], 2, v[14:15]
	v_cndmask_b32_e32 v13, v23, v13, vcc_lo
	s_delay_alu instid0(VALU_DEP_4) | instskip(NEXT) | instid1(VALU_DEP_2)
	v_cmp_ne_u32_e32 vcc_lo, 0, v3
	v_cmp_ne_u32_e64 s0, 0, v13
	s_delay_alu instid0(VALU_DEP_4) | instskip(NEXT) | instid1(VALU_DEP_1)
	v_dual_cndmask_b32 v13, v20, v18, vcc_lo :: v_dual_cndmask_b32 v3, v21, v19, vcc_lo
	v_dual_cndmask_b32 v14, v14, v13, s0 :: v_dual_cndmask_b32 v3, v15, v3, s0
	s_delay_alu instid0(VALU_DEP_1) | instskip(NEXT) | instid1(VALU_DEP_2)
	v_dual_mov_b32 v13, v12 :: v_dual_bitop2_b32 v14, v14, v12 bitop3:0x14
	v_xor_b32_e32 v15, v3, v12
	s_delay_alu instid0(VALU_DEP_1)
	v_sub_nc_u64_e32 v[12:13], v[14:15], v[12:13]
                                        ; implicit-def: $vgpr14_vgpr15
.LBB2_9:                                ;   in Loop: Header=BB2_2 Depth=1
	s_and_not1_saveexec_b32 s0, s25
	s_cbranch_execz .LBB2_11
; %bb.10:                               ;   in Loop: Header=BB2_2 Depth=1
	v_cvt_f32_u32_e32 v3, s12
	s_sub_co_i32 s2, 0, s12
	s_delay_alu instid0(VALU_DEP_1) | instskip(SKIP_1) | instid1(TRANS32_DEP_1)
	v_rcp_iflag_f32_e32 v3, v3
	v_nop
	v_mul_f32_e32 v3, 0x4f7ffffe, v3
	s_delay_alu instid0(VALU_DEP_1) | instskip(NEXT) | instid1(VALU_DEP_1)
	v_cvt_u32_f32_e32 v3, v3
	v_mul_lo_u32 v12, s2, v3
	s_delay_alu instid0(VALU_DEP_1) | instskip(NEXT) | instid1(VALU_DEP_1)
	v_mul_hi_u32 v12, v3, v12
	v_add_nc_u32_e32 v3, v3, v12
	s_delay_alu instid0(VALU_DEP_1) | instskip(NEXT) | instid1(VALU_DEP_1)
	v_mul_hi_u32 v3, v14, v3
	v_mul_lo_u32 v12, v3, s12
	s_delay_alu instid0(VALU_DEP_1) | instskip(NEXT) | instid1(VALU_DEP_1)
	v_dual_add_nc_u32 v13, 1, v3 :: v_dual_sub_nc_u32 v12, v14, v12
	v_subrev_nc_u32_e32 v14, s12, v12
	v_cmp_le_u32_e32 vcc_lo, s12, v12
	s_delay_alu instid0(VALU_DEP_2) | instskip(NEXT) | instid1(VALU_DEP_1)
	v_dual_cndmask_b32 v12, v12, v14 :: v_dual_cndmask_b32 v3, v3, v13
	v_cmp_le_u32_e32 vcc_lo, s12, v12
	s_delay_alu instid0(VALU_DEP_2) | instskip(NEXT) | instid1(VALU_DEP_1)
	v_add_nc_u32_e32 v13, 1, v3
	v_dual_cndmask_b32 v12, v3, v13 :: v_dual_mov_b32 v13, v2
.LBB2_11:                               ;   in Loop: Header=BB2_2 Depth=1
	s_or_b32 exec_lo, exec_lo, s0
	s_delay_alu instid0(VALU_DEP_1) | instskip(SKIP_1) | instid1(VALU_DEP_1)
	v_or_b32_e32 v3, s11, v13
                                        ; implicit-def: $vgpr14_vgpr15
	s_mov_b32 s0, exec_lo
	v_cmpx_ne_u64_e32 0, v[2:3]
	s_xor_b32 s25, exec_lo, s0
	s_cbranch_execz .LBB2_13
; %bb.12:                               ;   in Loop: Header=BB2_2 Depth=1
	s_ashr_i32 s28, s11, 31
	v_dual_mov_b32 v21, v2 :: v_dual_ashrrev_i32 v14, 31, v13
	s_mov_b32 s29, s28
	v_mov_b32_e32 v25, v2
	s_add_nc_u64 s[30:31], s[10:11], s[28:29]
	s_delay_alu instid0(VALU_DEP_2)
	v_mov_b32_e32 v15, v14
	s_xor_b64 s[30:31], s[30:31], s[28:29]
	v_mov_b32_e32 v29, v2
	s_cvt_f32_u32 s0, s30
	s_cvt_f32_u32 s2, s31
	s_sub_nc_u64 s[40:41], 0, s[30:31]
	v_add_nc_u64_e32 v[18:19], v[12:13], v[14:15]
	s_delay_alu instid0(SALU_CYCLE_1) | instskip(NEXT) | instid1(SALU_CYCLE_3)
	s_fmamk_f32 s0, s2, 0x4f800000, s0
	v_s_rcp_f32 s0, s0
	s_delay_alu instid0(VALU_DEP_1) | instskip(NEXT) | instid1(VALU_DEP_2)
	v_xor_b32_e32 v24, v19, v14
	v_xor_b32_e32 v20, v18, v14
	;; [unrolled: 1-line block ×3, first 2 shown]
	s_delay_alu instid0(TRANS32_DEP_1) | instskip(NEXT) | instid1(SALU_CYCLE_3)
	s_mul_f32 s0, s0, 0x5f7ffffc
	s_mul_f32 s2, s0, 0x2f800000
	s_delay_alu instid0(SALU_CYCLE_3) | instskip(NEXT) | instid1(SALU_CYCLE_3)
	s_trunc_f32 s2, s2
	s_fmamk_f32 s0, s2, 0xcf800000, s0
	s_cvt_u32_f32 s39, s2
	s_delay_alu instid0(SALU_CYCLE_2) | instskip(NEXT) | instid1(SALU_CYCLE_3)
	s_cvt_u32_f32 s38, s0
	s_mul_u64 s[42:43], s[40:41], s[38:39]
	s_delay_alu instid0(SALU_CYCLE_1)
	s_mul_hi_u32 s45, s38, s43
	s_mul_i32 s44, s38, s43
	s_mul_hi_u32 s2, s38, s42
	s_mul_i32 s27, s39, s42
	s_add_nc_u64 s[44:45], s[2:3], s[44:45]
	s_mul_hi_u32 s0, s39, s42
	s_mul_hi_u32 s29, s39, s43
	s_add_co_u32 s2, s44, s27
	s_add_co_ci_u32 s2, s45, s0
	s_mul_i32 s42, s39, s43
	s_add_co_ci_u32 s43, s29, 0
	s_delay_alu instid0(SALU_CYCLE_1) | instskip(NEXT) | instid1(SALU_CYCLE_1)
	s_add_nc_u64 s[42:43], s[2:3], s[42:43]
	s_add_co_u32 s38, s38, s42
	s_cselect_b32 s0, -1, 0
	s_delay_alu instid0(SALU_CYCLE_1) | instskip(SKIP_1) | instid1(SALU_CYCLE_1)
	s_cmp_lg_u32 s0, 0
	s_add_co_ci_u32 s39, s39, s43
	s_mul_u64 s[40:41], s[40:41], s[38:39]
	s_delay_alu instid0(SALU_CYCLE_1)
	s_mul_hi_u32 s43, s38, s41
	s_mul_i32 s42, s38, s41
	s_mul_hi_u32 s2, s38, s40
	s_mul_i32 s27, s39, s40
	s_add_nc_u64 s[42:43], s[2:3], s[42:43]
	s_mul_hi_u32 s0, s39, s40
	s_mul_hi_u32 s29, s39, s41
	s_add_co_u32 s2, s42, s27
	s_add_co_ci_u32 s2, s43, s0
	s_mul_i32 s40, s39, s41
	s_add_co_ci_u32 s41, s29, 0
	s_delay_alu instid0(SALU_CYCLE_1) | instskip(NEXT) | instid1(SALU_CYCLE_1)
	s_add_nc_u64 s[40:41], s[2:3], s[40:41]
	s_add_co_u32 s0, s38, s40
	s_cselect_b32 s2, -1, 0
	v_mul_hi_u32 v28, v20, s0
	s_cmp_lg_u32 s2, 0
	s_add_co_ci_u32 s2, s39, s41
	s_and_b64 s[38:39], s[0:1], s[22:23]
	v_mul_u64_e32 v[22:23], s[2:3], v[20:21]
	v_mul_u64_e32 v[18:19], s[38:39], v[24:25]
	;; [unrolled: 1-line block ×3, first 2 shown]
	s_delay_alu instid0(VALU_DEP_3) | instskip(NEXT) | instid1(VALU_DEP_1)
	v_add_nc_u64_e32 v[22:23], v[28:29], v[22:23]
	v_add_co_u32 v3, vcc_lo, v22, v18
	s_delay_alu instid0(VALU_DEP_2) | instskip(NEXT) | instid1(VALU_DEP_4)
	v_add_co_ci_u32_e32 v28, vcc_lo, v23, v19, vcc_lo
	v_add_co_ci_u32_e32 v27, vcc_lo, 0, v27, vcc_lo
	s_delay_alu instid0(VALU_DEP_1) | instskip(NEXT) | instid1(VALU_DEP_1)
	v_add_nc_u64_e32 v[18:19], v[28:29], v[26:27]
	v_mul_u64_e32 v[22:23], s[30:31], v[18:19]
	s_delay_alu instid0(VALU_DEP_1) | instskip(NEXT) | instid1(VALU_DEP_2)
	v_sub_nc_u32_e32 v3, v24, v23
	v_sub_co_u32 v13, vcc_lo, v20, v22
	s_delay_alu instid0(VALU_DEP_1) | instskip(NEXT) | instid1(VALU_DEP_3)
	v_sub_co_ci_u32_e64 v17, null, v24, v23, vcc_lo
	v_subrev_co_ci_u32_e64 v3, null, s31, v3, vcc_lo
	s_delay_alu instid0(VALU_DEP_3) | instskip(SKIP_1) | instid1(VALU_DEP_3)
	v_sub_co_u32 v15, s0, v13, s30
	v_add_nc_u64_e32 v[22:23], 1, v[18:19]
	v_subrev_co_ci_u32_e64 v3, null, 0, v3, s0
	s_delay_alu instid0(VALU_DEP_3) | instskip(SKIP_1) | instid1(VALU_DEP_3)
	v_cmp_le_u32_e32 vcc_lo, s30, v15
	v_cndmask_b32_e64 v15, 0, -1, vcc_lo
	v_cmp_le_u32_e32 vcc_lo, s31, v3
	v_cndmask_b32_e64 v20, 0, -1, vcc_lo
	;; [unrolled: 2-line block ×4, first 2 shown]
	v_cmp_eq_u32_e32 vcc_lo, s31, v3
	v_cndmask_b32_e32 v3, v20, v15, vcc_lo
	v_cmp_eq_u32_e32 vcc_lo, s31, v17
	v_add_nc_u64_e32 v[20:21], 2, v[18:19]
	v_dual_mov_b32 v15, v14 :: v_dual_cndmask_b32 v13, v24, v13, vcc_lo
	s_delay_alu instid0(VALU_DEP_4) | instskip(NEXT) | instid1(VALU_DEP_2)
	v_cmp_ne_u32_e32 vcc_lo, 0, v3
	v_cmp_ne_u32_e64 s0, 0, v13
	s_delay_alu instid0(VALU_DEP_4) | instskip(NEXT) | instid1(VALU_DEP_1)
	v_dual_cndmask_b32 v3, v23, v21, vcc_lo :: v_dual_cndmask_b32 v13, v22, v20, vcc_lo
	v_dual_cndmask_b32 v3, v19, v3, s0 :: v_dual_cndmask_b32 v13, v18, v13, s0
	s_delay_alu instid0(VALU_DEP_1) | instskip(NEXT) | instid1(VALU_DEP_2)
	v_xor_b32_e32 v19, v3, v14
	v_xor_b32_e32 v18, v13, v14
	s_delay_alu instid0(VALU_DEP_1)
	v_sub_nc_u64_e32 v[14:15], v[18:19], v[14:15]
.LBB2_13:                               ;   in Loop: Header=BB2_2 Depth=1
	s_and_not1_saveexec_b32 s0, s25
	s_cbranch_execz .LBB2_15
; %bb.14:                               ;   in Loop: Header=BB2_2 Depth=1
	v_cvt_f32_u32_e32 v3, s10
	s_sub_co_i32 s2, 0, s10
	s_delay_alu instid0(VALU_DEP_1) | instskip(SKIP_1) | instid1(TRANS32_DEP_1)
	v_rcp_iflag_f32_e32 v3, v3
	v_nop
	v_mul_f32_e32 v3, 0x4f7ffffe, v3
	s_delay_alu instid0(VALU_DEP_1) | instskip(NEXT) | instid1(VALU_DEP_1)
	v_cvt_u32_f32_e32 v3, v3
	v_mul_lo_u32 v13, s2, v3
	s_delay_alu instid0(VALU_DEP_1) | instskip(NEXT) | instid1(VALU_DEP_1)
	v_mul_hi_u32 v13, v3, v13
	v_add_nc_u32_e32 v3, v3, v13
	s_delay_alu instid0(VALU_DEP_1) | instskip(NEXT) | instid1(VALU_DEP_1)
	v_mul_hi_u32 v3, v12, v3
	v_mul_lo_u32 v13, v3, s10
	s_delay_alu instid0(VALU_DEP_1) | instskip(NEXT) | instid1(VALU_DEP_1)
	v_dual_add_nc_u32 v14, 1, v3 :: v_dual_sub_nc_u32 v13, v12, v13
	v_subrev_nc_u32_e32 v15, s10, v13
	v_cmp_le_u32_e32 vcc_lo, s10, v13
	s_delay_alu instid0(VALU_DEP_2) | instskip(NEXT) | instid1(VALU_DEP_1)
	v_dual_cndmask_b32 v13, v13, v15, vcc_lo :: v_dual_cndmask_b32 v3, v3, v14, vcc_lo
	v_cmp_le_u32_e32 vcc_lo, s10, v13
	s_delay_alu instid0(VALU_DEP_2) | instskip(NEXT) | instid1(VALU_DEP_1)
	v_add_nc_u32_e32 v14, 1, v3
	v_cndmask_b32_e32 v14, v3, v14, vcc_lo
.LBB2_15:                               ;   in Loop: Header=BB2_2 Depth=1
	s_or_b32 exec_lo, exec_lo, s0
	v_lshl_add_u64 v[10:11], v[10:11], 2, s[6:7]
	v_add_nc_u64_e32 v[0:1], s[18:19], v[0:1]
	v_add_nc_u64_e32 v[6:7], s[20:21], v[6:7]
	s_and_not1_b32 s0, s35, exec_lo
	s_and_not1_b32 s34, s34, exec_lo
	global_load_b32 v3, v[10:11], off
	s_wait_xcnt 0x0
	v_mul_lo_u32 v10, v14, s10
	v_cmp_le_i64_e32 vcc_lo, s[4:5], v[0:1]
	s_and_b32 s2, vcc_lo, exec_lo
	s_delay_alu instid0(VALU_DEP_2) | instskip(SKIP_2) | instid1(VALU_DEP_2)
	v_sub_nc_u32_e32 v10, v12, v10
	v_ashrrev_i32_e32 v12, 31, v14
	s_or_b32 s35, s0, s2
	v_ashrrev_i32_e32 v11, 31, v10
	s_delay_alu instid0(VALU_DEP_1) | instskip(NEXT) | instid1(VALU_DEP_1)
	v_mad_nc_u64_u32 v[10:11], v14, s10, v[10:11]
	v_mad_u32 v11, v12, s10, v11
	s_delay_alu instid0(VALU_DEP_1) | instskip(NEXT) | instid1(VALU_DEP_1)
	v_mad_u32 v11, v14, s11, v11
	v_mul_u64_e32 v[10:11], s[16:17], v[10:11]
	s_delay_alu instid0(VALU_DEP_1) | instskip(NEXT) | instid1(VALU_DEP_1)
	v_lshl_add_u64 v[4:5], v[10:11], 2, v[4:5]
	v_lshl_add_u64 v[8:9], v[8:9], 2, v[4:5]
	s_wait_loadcnt 0x0
	global_store_b32 v[8:9], v3, off
.LBB2_16:                               ;   in Loop: Header=BB2_2 Depth=1
	s_wait_xcnt 0x0
	s_or_b32 exec_lo, exec_lo, s36
	s_delay_alu instid0(SALU_CYCLE_1) | instskip(NEXT) | instid1(SALU_CYCLE_1)
	s_and_b32 s0, exec_lo, s35
	s_or_b32 s1, s0, s1
	s_and_not1_b32 s0, s33, exec_lo
	s_and_b32 s2, s34, exec_lo
	s_delay_alu instid0(SALU_CYCLE_1)
	s_or_b32 s33, s0, s2
	s_and_not1_b32 exec_lo, exec_lo, s1
	s_cbranch_execnz .LBB2_2
; %bb.17:
	s_or_b32 exec_lo, exec_lo, s1
	s_and_saveexec_b32 s0, s33
	s_delay_alu instid0(SALU_CYCLE_1)
	s_xor_b32 s0, exec_lo, s0
	s_cbranch_execnz .LBB2_19
.LBB2_18:
	s_endpgm
.LBB2_19:
	s_trap 2
	; divergent unreachable
	s_endpgm
	.section	.rodata,"a",@progbits
	.p2align	6, 0x0
	.amdhsa_kernel _ZN2at6native30max_unpooling2d_forward_kernelIiEEvlPKT_PKllllllPS2_
		.amdhsa_group_segment_fixed_size 0
		.amdhsa_private_segment_fixed_size 0
		.amdhsa_kernarg_size 328
		.amdhsa_user_sgpr_count 2
		.amdhsa_user_sgpr_dispatch_ptr 0
		.amdhsa_user_sgpr_queue_ptr 0
		.amdhsa_user_sgpr_kernarg_segment_ptr 1
		.amdhsa_user_sgpr_dispatch_id 0
		.amdhsa_user_sgpr_kernarg_preload_length 0
		.amdhsa_user_sgpr_kernarg_preload_offset 0
		.amdhsa_user_sgpr_private_segment_size 0
		.amdhsa_wavefront_size32 1
		.amdhsa_uses_dynamic_stack 0
		.amdhsa_enable_private_segment 0
		.amdhsa_system_sgpr_workgroup_id_x 1
		.amdhsa_system_sgpr_workgroup_id_y 0
		.amdhsa_system_sgpr_workgroup_id_z 0
		.amdhsa_system_sgpr_workgroup_info 0
		.amdhsa_system_vgpr_workitem_id 0
		.amdhsa_next_free_vgpr 30
		.amdhsa_next_free_sgpr 46
		.amdhsa_named_barrier_count 0
		.amdhsa_reserve_vcc 1
		.amdhsa_float_round_mode_32 0
		.amdhsa_float_round_mode_16_64 0
		.amdhsa_float_denorm_mode_32 3
		.amdhsa_float_denorm_mode_16_64 3
		.amdhsa_fp16_overflow 0
		.amdhsa_memory_ordered 1
		.amdhsa_forward_progress 1
		.amdhsa_inst_pref_size 22
		.amdhsa_round_robin_scheduling 0
		.amdhsa_exception_fp_ieee_invalid_op 0
		.amdhsa_exception_fp_denorm_src 0
		.amdhsa_exception_fp_ieee_div_zero 0
		.amdhsa_exception_fp_ieee_overflow 0
		.amdhsa_exception_fp_ieee_underflow 0
		.amdhsa_exception_fp_ieee_inexact 0
		.amdhsa_exception_int_div_zero 0
	.end_amdhsa_kernel
	.section	.text._ZN2at6native30max_unpooling2d_forward_kernelIiEEvlPKT_PKllllllPS2_,"axG",@progbits,_ZN2at6native30max_unpooling2d_forward_kernelIiEEvlPKT_PKllllllPS2_,comdat
.Lfunc_end2:
	.size	_ZN2at6native30max_unpooling2d_forward_kernelIiEEvlPKT_PKllllllPS2_, .Lfunc_end2-_ZN2at6native30max_unpooling2d_forward_kernelIiEEvlPKT_PKllllllPS2_
                                        ; -- End function
	.set _ZN2at6native30max_unpooling2d_forward_kernelIiEEvlPKT_PKllllllPS2_.num_vgpr, 30
	.set _ZN2at6native30max_unpooling2d_forward_kernelIiEEvlPKT_PKllllllPS2_.num_agpr, 0
	.set _ZN2at6native30max_unpooling2d_forward_kernelIiEEvlPKT_PKllllllPS2_.numbered_sgpr, 46
	.set _ZN2at6native30max_unpooling2d_forward_kernelIiEEvlPKT_PKllllllPS2_.num_named_barrier, 0
	.set _ZN2at6native30max_unpooling2d_forward_kernelIiEEvlPKT_PKllllllPS2_.private_seg_size, 0
	.set _ZN2at6native30max_unpooling2d_forward_kernelIiEEvlPKT_PKllllllPS2_.uses_vcc, 1
	.set _ZN2at6native30max_unpooling2d_forward_kernelIiEEvlPKT_PKllllllPS2_.uses_flat_scratch, 0
	.set _ZN2at6native30max_unpooling2d_forward_kernelIiEEvlPKT_PKllllllPS2_.has_dyn_sized_stack, 0
	.set _ZN2at6native30max_unpooling2d_forward_kernelIiEEvlPKT_PKllllllPS2_.has_recursion, 0
	.set _ZN2at6native30max_unpooling2d_forward_kernelIiEEvlPKT_PKllllllPS2_.has_indirect_call, 0
	.section	.AMDGPU.csdata,"",@progbits
; Kernel info:
; codeLenInByte = 2696
; TotalNumSgprs: 48
; NumVgprs: 30
; ScratchSize: 0
; MemoryBound: 0
; FloatMode: 240
; IeeeMode: 1
; LDSByteSize: 0 bytes/workgroup (compile time only)
; SGPRBlocks: 0
; VGPRBlocks: 1
; NumSGPRsForWavesPerEU: 48
; NumVGPRsForWavesPerEU: 30
; NamedBarCnt: 0
; Occupancy: 16
; WaveLimiterHint : 1
; COMPUTE_PGM_RSRC2:SCRATCH_EN: 0
; COMPUTE_PGM_RSRC2:USER_SGPR: 2
; COMPUTE_PGM_RSRC2:TRAP_HANDLER: 0
; COMPUTE_PGM_RSRC2:TGID_X_EN: 1
; COMPUTE_PGM_RSRC2:TGID_Y_EN: 0
; COMPUTE_PGM_RSRC2:TGID_Z_EN: 0
; COMPUTE_PGM_RSRC2:TIDIG_COMP_CNT: 0
	.section	.text._ZN2at6native30max_unpooling2d_forward_kernelIlEEvlPKT_PKllllllPS2_,"axG",@progbits,_ZN2at6native30max_unpooling2d_forward_kernelIlEEvlPKT_PKllllllPS2_,comdat
	.protected	_ZN2at6native30max_unpooling2d_forward_kernelIlEEvlPKT_PKllllllPS2_ ; -- Begin function _ZN2at6native30max_unpooling2d_forward_kernelIlEEvlPKT_PKllllllPS2_
	.globl	_ZN2at6native30max_unpooling2d_forward_kernelIlEEvlPKT_PKllllllPS2_
	.p2align	8
	.type	_ZN2at6native30max_unpooling2d_forward_kernelIlEEvlPKT_PKllllllPS2_,@function
_ZN2at6native30max_unpooling2d_forward_kernelIlEEvlPKT_PKllllllPS2_: ; @_ZN2at6native30max_unpooling2d_forward_kernelIlEEvlPKT_PKllllllPS2_
; %bb.0:
	s_load_b32 s2, s[0:1], 0x54
	s_bfe_u32 s4, ttmp6, 0x4000c
	v_mov_b32_e32 v2, 0
	s_add_co_i32 s21, s4, 1
	s_load_b512 s[4:19], s[0:1], 0x0
	s_and_b32 s3, ttmp6, 15
	s_mul_i32 s21, ttmp9, s21
	s_getreg_b32 s20, hwreg(HW_REG_IB_STS2, 6, 4)
	v_mov_b32_e32 v1, v2
	s_add_co_i32 s3, s3, s21
	s_wait_kmcnt 0x0
	s_and_b32 s2, s2, 0xffff
	s_cmp_eq_u32 s20, 0
	s_mov_b32 s20, exec_lo
	s_cselect_b32 s3, ttmp9, s3
	s_delay_alu instid0(SALU_CYCLE_1) | instskip(SKIP_1) | instid1(VALU_DEP_1)
	v_mad_nc_u64_u32 v[0:1], s2, s3, v[0:1]
	s_mov_b32 s3, 0
	v_cmpx_gt_i64_e64 s[4:5], v[0:1]
	s_cbranch_execz .LBB3_18
; %bb.1:
	v_cvt_f32_u32_e32 v3, s14
	s_sub_co_i32 s22, 0, s14
	s_add_nc_u64 s[20:21], s[0:1], 0x48
	s_load_b64 s[0:1], s[0:1], 0x40
	s_mul_u64 s[16:17], s[18:19], s[16:17]
	v_rcp_iflag_f32_e32 v3, v3
	s_load_b32 s21, s[20:21], 0x0
	s_mov_b32 s19, s3
	s_wait_xcnt 0x0
	s_mov_b32 s20, s3
	s_ashr_i32 s24, s15, 31
	s_ashr_i32 s26, s13, 31
                                        ; implicit-def: $sgpr33
                                        ; implicit-def: $sgpr35
                                        ; implicit-def: $sgpr34
	v_nop
	v_mul_f32_e32 v3, 0x4f7ffffe, v3
	s_delay_alu instid0(VALU_DEP_1) | instskip(NEXT) | instid1(VALU_DEP_1)
	v_cvt_u32_f32_e32 v6, v3
	v_mul_lo_u32 v3, s22, v6
	s_wait_kmcnt 0x0
	v_mov_b64_e32 v[4:5], s[0:1]
	s_mov_b64 s[22:23], 0xffffffff
	s_mov_b32 s1, 0
	s_mul_i32 s18, s21, s2
	s_delay_alu instid0(SALU_CYCLE_1) | instskip(NEXT) | instid1(VALU_DEP_2)
	s_mov_b32 s21, s18
	v_mul_hi_u32 v7, v6, v3
	s_delay_alu instid0(VALU_DEP_1) | instskip(NEXT) | instid1(VALU_DEP_1)
	v_dual_mov_b32 v3, v0 :: v_dual_add_nc_u32 v16, v6, v7
	v_mov_b64_e32 v[6:7], v[2:3]
.LBB3_2:                                ; =>This Inner Loop Header: Depth=1
	s_delay_alu instid0(VALU_DEP_1) | instskip(SKIP_2) | instid1(VALU_DEP_1)
	v_ashrrev_i64 v[8:9], 29, v[6:7]
	s_or_b32 s34, s34, exec_lo
	s_or_b32 s35, s35, exec_lo
	v_add_nc_u64_e32 v[8:9], s[8:9], v[8:9]
	global_load_b64 v[8:9], v[8:9], off
	s_wait_loadcnt 0x0
	s_wait_xcnt 0x0
	v_ashrrev_i32_e32 v9, 31, v8
	v_cmp_lt_i32_e64 s0, -1, v8
	s_delay_alu instid0(VALU_DEP_2) | instskip(SKIP_1) | instid1(SALU_CYCLE_1)
	v_cmp_gt_i64_e32 vcc_lo, s[16:17], v[8:9]
	s_and_b32 s0, s0, vcc_lo
	s_and_saveexec_b32 s36, s0
	s_cbranch_execz .LBB3_16
; %bb.3:                                ;   in Loop: Header=BB3_2 Depth=1
	v_dual_mov_b32 v10, v7 :: v_dual_ashrrev_i32 v11, 31, v7
                                        ; implicit-def: $vgpr14_vgpr15
	s_mov_b32 s0, exec_lo
	s_delay_alu instid0(VALU_DEP_1) | instskip(NEXT) | instid1(VALU_DEP_1)
	v_or_b32_e32 v3, s15, v11
	v_cmpx_ne_u64_e32 0, v[2:3]
	s_xor_b32 s27, exec_lo, s0
	s_cbranch_execz .LBB3_5
; %bb.4:                                ;   in Loop: Header=BB3_2 Depth=1
	s_mov_b32 s25, s24
	v_dual_mov_b32 v19, v2 :: v_dual_ashrrev_i32 v12, 31, v11
	s_add_nc_u64 s[28:29], s[14:15], s[24:25]
	v_mov_b32_e32 v27, v2
	s_xor_b64 s[28:29], s[28:29], s[24:25]
	s_delay_alu instid0(VALU_DEP_2) | instskip(SKIP_3) | instid1(VALU_DEP_1)
	v_mov_b32_e32 v13, v12
	s_cvt_f32_u32 s0, s28
	s_cvt_f32_u32 s2, s29
	s_sub_nc_u64 s[38:39], 0, s[28:29]
	v_add_nc_u64_e32 v[14:15], v[10:11], v[12:13]
	s_delay_alu instid0(SALU_CYCLE_1) | instskip(SKIP_1) | instid1(SALU_CYCLE_2)
	s_fmamk_f32 s0, s2, 0x4f800000, s0
	v_mov_b32_e32 v23, v2
	v_s_rcp_f32 s0, s0
	s_delay_alu instid0(VALU_DEP_2) | instskip(NEXT) | instid1(VALU_DEP_3)
	v_xor_b32_e32 v18, v14, v12
	v_xor_b32_e32 v22, v15, v12
	v_xor_b32_e32 v12, s24, v12
	s_delay_alu instid0(TRANS32_DEP_1) | instskip(NEXT) | instid1(SALU_CYCLE_3)
	s_mul_f32 s0, s0, 0x5f7ffffc
	s_mul_f32 s2, s0, 0x2f800000
	s_delay_alu instid0(SALU_CYCLE_3) | instskip(NEXT) | instid1(SALU_CYCLE_3)
	s_trunc_f32 s2, s2
	s_fmamk_f32 s0, s2, 0xcf800000, s0
	s_cvt_u32_f32 s31, s2
	s_delay_alu instid0(SALU_CYCLE_2) | instskip(NEXT) | instid1(SALU_CYCLE_3)
	s_cvt_u32_f32 s30, s0
	s_mul_u64 s[40:41], s[38:39], s[30:31]
	s_delay_alu instid0(SALU_CYCLE_1)
	s_mul_hi_u32 s43, s30, s41
	s_mul_i32 s42, s30, s41
	s_mul_hi_u32 s2, s30, s40
	s_mul_i32 s25, s31, s40
	s_add_nc_u64 s[42:43], s[2:3], s[42:43]
	s_mul_hi_u32 s0, s31, s40
	s_mul_hi_u32 s37, s31, s41
	s_add_co_u32 s2, s42, s25
	s_add_co_ci_u32 s2, s43, s0
	s_mul_i32 s40, s31, s41
	s_add_co_ci_u32 s41, s37, 0
	s_delay_alu instid0(SALU_CYCLE_1) | instskip(NEXT) | instid1(SALU_CYCLE_1)
	s_add_nc_u64 s[40:41], s[2:3], s[40:41]
	s_add_co_u32 s30, s30, s40
	s_cselect_b32 s0, -1, 0
	s_delay_alu instid0(SALU_CYCLE_1) | instskip(SKIP_1) | instid1(SALU_CYCLE_1)
	s_cmp_lg_u32 s0, 0
	s_add_co_ci_u32 s31, s31, s41
	s_mul_u64 s[38:39], s[38:39], s[30:31]
	s_delay_alu instid0(SALU_CYCLE_1)
	s_mul_hi_u32 s41, s30, s39
	s_mul_i32 s40, s30, s39
	s_mul_hi_u32 s2, s30, s38
	s_mul_i32 s25, s31, s38
	s_add_nc_u64 s[40:41], s[2:3], s[40:41]
	s_mul_hi_u32 s0, s31, s38
	s_mul_hi_u32 s37, s31, s39
	s_add_co_u32 s2, s40, s25
	s_add_co_ci_u32 s2, s41, s0
	s_mul_i32 s38, s31, s39
	s_add_co_ci_u32 s39, s37, 0
	s_delay_alu instid0(SALU_CYCLE_1) | instskip(NEXT) | instid1(SALU_CYCLE_1)
	s_add_nc_u64 s[38:39], s[2:3], s[38:39]
	s_add_co_u32 s0, s30, s38
	s_cselect_b32 s2, -1, 0
	v_mul_hi_u32 v26, v18, s0
	s_cmp_lg_u32 s2, 0
	s_add_co_ci_u32 s2, s31, s39
	s_and_b64 s[30:31], s[0:1], s[22:23]
	v_mul_u64_e32 v[20:21], s[2:3], v[18:19]
	v_mul_u64_e32 v[14:15], s[30:31], v[22:23]
	;; [unrolled: 1-line block ×3, first 2 shown]
	s_delay_alu instid0(VALU_DEP_3) | instskip(NEXT) | instid1(VALU_DEP_1)
	v_add_nc_u64_e32 v[20:21], v[26:27], v[20:21]
	v_add_co_u32 v3, vcc_lo, v20, v14
	s_delay_alu instid0(VALU_DEP_2) | instskip(NEXT) | instid1(VALU_DEP_4)
	v_add_co_ci_u32_e32 v26, vcc_lo, v21, v15, vcc_lo
	v_add_co_ci_u32_e32 v25, vcc_lo, 0, v25, vcc_lo
	s_delay_alu instid0(VALU_DEP_1) | instskip(NEXT) | instid1(VALU_DEP_1)
	v_add_nc_u64_e32 v[14:15], v[26:27], v[24:25]
	v_mul_u64_e32 v[20:21], s[28:29], v[14:15]
	s_delay_alu instid0(VALU_DEP_1) | instskip(NEXT) | instid1(VALU_DEP_2)
	v_sub_nc_u32_e32 v3, v22, v21
	v_sub_co_u32 v13, vcc_lo, v18, v20
	s_delay_alu instid0(VALU_DEP_1) | instskip(NEXT) | instid1(VALU_DEP_3)
	v_sub_co_ci_u32_e64 v22, null, v22, v21, vcc_lo
	v_subrev_co_ci_u32_e64 v3, null, s29, v3, vcc_lo
	s_delay_alu instid0(VALU_DEP_3) | instskip(SKIP_1) | instid1(VALU_DEP_3)
	v_sub_co_u32 v17, s0, v13, s28
	v_add_nc_u64_e32 v[20:21], 1, v[14:15]
	v_subrev_co_ci_u32_e64 v3, null, 0, v3, s0
	s_delay_alu instid0(VALU_DEP_3) | instskip(SKIP_1) | instid1(VALU_DEP_3)
	v_cmp_le_u32_e32 vcc_lo, s28, v17
	v_cndmask_b32_e64 v17, 0, -1, vcc_lo
	v_cmp_le_u32_e32 vcc_lo, s29, v3
	v_cndmask_b32_e64 v18, 0, -1, vcc_lo
	v_cmp_le_u32_e32 vcc_lo, s28, v13
	v_cndmask_b32_e64 v13, 0, -1, vcc_lo
	v_cmp_le_u32_e32 vcc_lo, s29, v22
	v_cndmask_b32_e64 v23, 0, -1, vcc_lo
	v_cmp_eq_u32_e32 vcc_lo, s29, v3
	v_cndmask_b32_e32 v3, v18, v17, vcc_lo
	v_cmp_eq_u32_e32 vcc_lo, s29, v22
	v_add_nc_u64_e32 v[18:19], 2, v[14:15]
	v_cndmask_b32_e32 v13, v23, v13, vcc_lo
	s_delay_alu instid0(VALU_DEP_4) | instskip(NEXT) | instid1(VALU_DEP_2)
	v_cmp_ne_u32_e32 vcc_lo, 0, v3
	v_cmp_ne_u32_e64 s0, 0, v13
	s_delay_alu instid0(VALU_DEP_4) | instskip(NEXT) | instid1(VALU_DEP_1)
	v_dual_cndmask_b32 v13, v20, v18, vcc_lo :: v_dual_cndmask_b32 v3, v21, v19, vcc_lo
	v_dual_cndmask_b32 v14, v14, v13, s0 :: v_dual_cndmask_b32 v3, v15, v3, s0
	s_delay_alu instid0(VALU_DEP_1) | instskip(NEXT) | instid1(VALU_DEP_2)
	v_dual_mov_b32 v13, v12 :: v_dual_bitop2_b32 v14, v14, v12 bitop3:0x14
	v_xor_b32_e32 v15, v3, v12
	s_delay_alu instid0(VALU_DEP_1)
	v_sub_nc_u64_e32 v[14:15], v[14:15], v[12:13]
.LBB3_5:                                ;   in Loop: Header=BB3_2 Depth=1
	s_and_not1_saveexec_b32 s0, s27
	s_cbranch_execz .LBB3_7
; %bb.6:                                ;   in Loop: Header=BB3_2 Depth=1
	v_mul_hi_u32 v3, v7, v16
	v_mov_b32_e32 v15, v2
	s_delay_alu instid0(VALU_DEP_2) | instskip(NEXT) | instid1(VALU_DEP_1)
	v_mul_lo_u32 v12, v3, s14
	v_dual_add_nc_u32 v13, 1, v3 :: v_dual_sub_nc_u32 v12, v7, v12
	s_delay_alu instid0(VALU_DEP_1) | instskip(SKIP_1) | instid1(VALU_DEP_2)
	v_subrev_nc_u32_e32 v14, s14, v12
	v_cmp_le_u32_e32 vcc_lo, s14, v12
	v_dual_cndmask_b32 v12, v12, v14 :: v_dual_cndmask_b32 v3, v3, v13
	s_delay_alu instid0(VALU_DEP_1) | instskip(NEXT) | instid1(VALU_DEP_2)
	v_cmp_le_u32_e32 vcc_lo, s14, v12
	v_add_nc_u32_e32 v13, 1, v3
	s_delay_alu instid0(VALU_DEP_1)
	v_cndmask_b32_e32 v14, v3, v13, vcc_lo
.LBB3_7:                                ;   in Loop: Header=BB3_2 Depth=1
	s_or_b32 exec_lo, exec_lo, s0
	s_delay_alu instid0(VALU_DEP_1) | instskip(SKIP_1) | instid1(VALU_DEP_1)
	v_or_b32_e32 v3, s13, v15
                                        ; implicit-def: $vgpr12_vgpr13
	s_mov_b32 s0, exec_lo
	v_cmpx_ne_u64_e32 0, v[2:3]
	s_xor_b32 s25, exec_lo, s0
	s_cbranch_execz .LBB3_9
; %bb.8:                                ;   in Loop: Header=BB3_2 Depth=1
	s_mov_b32 s27, s26
	v_dual_mov_b32 v19, v2 :: v_dual_ashrrev_i32 v12, 31, v15
	s_add_nc_u64 s[28:29], s[12:13], s[26:27]
	v_mov_b32_e32 v27, v2
	s_xor_b64 s[28:29], s[28:29], s[26:27]
	s_delay_alu instid0(VALU_DEP_2) | instskip(SKIP_3) | instid1(VALU_DEP_1)
	v_mov_b32_e32 v13, v12
	s_cvt_f32_u32 s0, s28
	s_cvt_f32_u32 s2, s29
	s_sub_nc_u64 s[38:39], 0, s[28:29]
	v_add_nc_u64_e32 v[14:15], v[14:15], v[12:13]
	s_delay_alu instid0(SALU_CYCLE_1) | instskip(SKIP_1) | instid1(SALU_CYCLE_2)
	s_fmamk_f32 s0, s2, 0x4f800000, s0
	v_mov_b32_e32 v23, v2
	v_s_rcp_f32 s0, s0
	s_delay_alu instid0(VALU_DEP_2) | instskip(NEXT) | instid1(VALU_DEP_3)
	v_xor_b32_e32 v18, v14, v12
	v_xor_b32_e32 v22, v15, v12
	;; [unrolled: 1-line block ×3, first 2 shown]
	s_delay_alu instid0(TRANS32_DEP_1) | instskip(NEXT) | instid1(SALU_CYCLE_3)
	s_mul_f32 s0, s0, 0x5f7ffffc
	s_mul_f32 s2, s0, 0x2f800000
	s_delay_alu instid0(SALU_CYCLE_3) | instskip(NEXT) | instid1(SALU_CYCLE_3)
	s_trunc_f32 s2, s2
	s_fmamk_f32 s0, s2, 0xcf800000, s0
	s_cvt_u32_f32 s31, s2
	s_delay_alu instid0(SALU_CYCLE_2) | instskip(NEXT) | instid1(SALU_CYCLE_3)
	s_cvt_u32_f32 s30, s0
	s_mul_u64 s[40:41], s[38:39], s[30:31]
	s_delay_alu instid0(SALU_CYCLE_1)
	s_mul_hi_u32 s43, s30, s41
	s_mul_i32 s42, s30, s41
	s_mul_hi_u32 s2, s30, s40
	s_mul_i32 s27, s31, s40
	s_add_nc_u64 s[42:43], s[2:3], s[42:43]
	s_mul_hi_u32 s0, s31, s40
	s_mul_hi_u32 s37, s31, s41
	s_add_co_u32 s2, s42, s27
	s_add_co_ci_u32 s2, s43, s0
	s_mul_i32 s40, s31, s41
	s_add_co_ci_u32 s41, s37, 0
	s_delay_alu instid0(SALU_CYCLE_1) | instskip(NEXT) | instid1(SALU_CYCLE_1)
	s_add_nc_u64 s[40:41], s[2:3], s[40:41]
	s_add_co_u32 s30, s30, s40
	s_cselect_b32 s0, -1, 0
	s_delay_alu instid0(SALU_CYCLE_1) | instskip(SKIP_1) | instid1(SALU_CYCLE_1)
	s_cmp_lg_u32 s0, 0
	s_add_co_ci_u32 s31, s31, s41
	s_mul_u64 s[38:39], s[38:39], s[30:31]
	s_delay_alu instid0(SALU_CYCLE_1)
	s_mul_hi_u32 s41, s30, s39
	s_mul_i32 s40, s30, s39
	s_mul_hi_u32 s2, s30, s38
	s_mul_i32 s27, s31, s38
	s_add_nc_u64 s[40:41], s[2:3], s[40:41]
	s_mul_hi_u32 s0, s31, s38
	s_mul_hi_u32 s37, s31, s39
	s_add_co_u32 s2, s40, s27
	s_add_co_ci_u32 s2, s41, s0
	s_mul_i32 s38, s31, s39
	s_add_co_ci_u32 s39, s37, 0
	s_delay_alu instid0(SALU_CYCLE_1) | instskip(NEXT) | instid1(SALU_CYCLE_1)
	s_add_nc_u64 s[38:39], s[2:3], s[38:39]
	s_add_co_u32 s0, s30, s38
	s_cselect_b32 s2, -1, 0
	v_mul_hi_u32 v26, v18, s0
	s_cmp_lg_u32 s2, 0
	s_add_co_ci_u32 s2, s31, s39
	s_and_b64 s[30:31], s[0:1], s[22:23]
	v_mul_u64_e32 v[20:21], s[2:3], v[18:19]
	v_mul_u64_e32 v[14:15], s[30:31], v[22:23]
	;; [unrolled: 1-line block ×3, first 2 shown]
	s_delay_alu instid0(VALU_DEP_3) | instskip(NEXT) | instid1(VALU_DEP_1)
	v_add_nc_u64_e32 v[20:21], v[26:27], v[20:21]
	v_add_co_u32 v3, vcc_lo, v20, v14
	s_delay_alu instid0(VALU_DEP_2) | instskip(NEXT) | instid1(VALU_DEP_4)
	v_add_co_ci_u32_e32 v26, vcc_lo, v21, v15, vcc_lo
	v_add_co_ci_u32_e32 v25, vcc_lo, 0, v25, vcc_lo
	s_delay_alu instid0(VALU_DEP_1) | instskip(NEXT) | instid1(VALU_DEP_1)
	v_add_nc_u64_e32 v[14:15], v[26:27], v[24:25]
	v_mul_u64_e32 v[20:21], s[28:29], v[14:15]
	s_delay_alu instid0(VALU_DEP_1) | instskip(NEXT) | instid1(VALU_DEP_2)
	v_sub_nc_u32_e32 v3, v22, v21
	v_sub_co_u32 v13, vcc_lo, v18, v20
	s_delay_alu instid0(VALU_DEP_1) | instskip(NEXT) | instid1(VALU_DEP_3)
	v_sub_co_ci_u32_e64 v22, null, v22, v21, vcc_lo
	v_subrev_co_ci_u32_e64 v3, null, s29, v3, vcc_lo
	s_delay_alu instid0(VALU_DEP_3) | instskip(SKIP_1) | instid1(VALU_DEP_3)
	v_sub_co_u32 v17, s0, v13, s28
	v_add_nc_u64_e32 v[20:21], 1, v[14:15]
	v_subrev_co_ci_u32_e64 v3, null, 0, v3, s0
	s_delay_alu instid0(VALU_DEP_3) | instskip(SKIP_1) | instid1(VALU_DEP_3)
	v_cmp_le_u32_e32 vcc_lo, s28, v17
	v_cndmask_b32_e64 v17, 0, -1, vcc_lo
	v_cmp_le_u32_e32 vcc_lo, s29, v3
	v_cndmask_b32_e64 v18, 0, -1, vcc_lo
	;; [unrolled: 2-line block ×4, first 2 shown]
	v_cmp_eq_u32_e32 vcc_lo, s29, v3
	v_cndmask_b32_e32 v3, v18, v17, vcc_lo
	v_cmp_eq_u32_e32 vcc_lo, s29, v22
	v_add_nc_u64_e32 v[18:19], 2, v[14:15]
	v_cndmask_b32_e32 v13, v23, v13, vcc_lo
	s_delay_alu instid0(VALU_DEP_4) | instskip(NEXT) | instid1(VALU_DEP_2)
	v_cmp_ne_u32_e32 vcc_lo, 0, v3
	v_cmp_ne_u32_e64 s0, 0, v13
	s_delay_alu instid0(VALU_DEP_4) | instskip(NEXT) | instid1(VALU_DEP_1)
	v_dual_cndmask_b32 v13, v20, v18, vcc_lo :: v_dual_cndmask_b32 v3, v21, v19, vcc_lo
	v_dual_cndmask_b32 v14, v14, v13, s0 :: v_dual_cndmask_b32 v3, v15, v3, s0
	s_delay_alu instid0(VALU_DEP_1) | instskip(NEXT) | instid1(VALU_DEP_2)
	v_dual_mov_b32 v13, v12 :: v_dual_bitop2_b32 v14, v14, v12 bitop3:0x14
	v_xor_b32_e32 v15, v3, v12
	s_delay_alu instid0(VALU_DEP_1)
	v_sub_nc_u64_e32 v[12:13], v[14:15], v[12:13]
                                        ; implicit-def: $vgpr14_vgpr15
.LBB3_9:                                ;   in Loop: Header=BB3_2 Depth=1
	s_and_not1_saveexec_b32 s0, s25
	s_cbranch_execz .LBB3_11
; %bb.10:                               ;   in Loop: Header=BB3_2 Depth=1
	v_cvt_f32_u32_e32 v3, s12
	s_sub_co_i32 s2, 0, s12
	s_delay_alu instid0(VALU_DEP_1) | instskip(SKIP_1) | instid1(TRANS32_DEP_1)
	v_rcp_iflag_f32_e32 v3, v3
	v_nop
	v_mul_f32_e32 v3, 0x4f7ffffe, v3
	s_delay_alu instid0(VALU_DEP_1) | instskip(NEXT) | instid1(VALU_DEP_1)
	v_cvt_u32_f32_e32 v3, v3
	v_mul_lo_u32 v12, s2, v3
	s_delay_alu instid0(VALU_DEP_1) | instskip(NEXT) | instid1(VALU_DEP_1)
	v_mul_hi_u32 v12, v3, v12
	v_add_nc_u32_e32 v3, v3, v12
	s_delay_alu instid0(VALU_DEP_1) | instskip(NEXT) | instid1(VALU_DEP_1)
	v_mul_hi_u32 v3, v14, v3
	v_mul_lo_u32 v12, v3, s12
	s_delay_alu instid0(VALU_DEP_1) | instskip(NEXT) | instid1(VALU_DEP_1)
	v_dual_add_nc_u32 v13, 1, v3 :: v_dual_sub_nc_u32 v12, v14, v12
	v_subrev_nc_u32_e32 v14, s12, v12
	v_cmp_le_u32_e32 vcc_lo, s12, v12
	s_delay_alu instid0(VALU_DEP_2) | instskip(NEXT) | instid1(VALU_DEP_1)
	v_dual_cndmask_b32 v12, v12, v14 :: v_dual_cndmask_b32 v3, v3, v13
	v_cmp_le_u32_e32 vcc_lo, s12, v12
	s_delay_alu instid0(VALU_DEP_2) | instskip(NEXT) | instid1(VALU_DEP_1)
	v_add_nc_u32_e32 v13, 1, v3
	v_dual_cndmask_b32 v12, v3, v13 :: v_dual_mov_b32 v13, v2
.LBB3_11:                               ;   in Loop: Header=BB3_2 Depth=1
	s_or_b32 exec_lo, exec_lo, s0
	s_delay_alu instid0(VALU_DEP_1) | instskip(SKIP_1) | instid1(VALU_DEP_1)
	v_or_b32_e32 v3, s11, v13
                                        ; implicit-def: $vgpr14_vgpr15
	s_mov_b32 s0, exec_lo
	v_cmpx_ne_u64_e32 0, v[2:3]
	s_xor_b32 s25, exec_lo, s0
	s_cbranch_execz .LBB3_13
; %bb.12:                               ;   in Loop: Header=BB3_2 Depth=1
	s_ashr_i32 s28, s11, 31
	v_dual_mov_b32 v21, v2 :: v_dual_ashrrev_i32 v14, 31, v13
	s_mov_b32 s29, s28
	v_mov_b32_e32 v25, v2
	s_add_nc_u64 s[30:31], s[10:11], s[28:29]
	s_delay_alu instid0(VALU_DEP_2)
	v_mov_b32_e32 v15, v14
	s_xor_b64 s[30:31], s[30:31], s[28:29]
	v_mov_b32_e32 v29, v2
	s_cvt_f32_u32 s0, s30
	s_cvt_f32_u32 s2, s31
	s_sub_nc_u64 s[40:41], 0, s[30:31]
	v_add_nc_u64_e32 v[18:19], v[12:13], v[14:15]
	s_delay_alu instid0(SALU_CYCLE_1) | instskip(NEXT) | instid1(SALU_CYCLE_3)
	s_fmamk_f32 s0, s2, 0x4f800000, s0
	v_s_rcp_f32 s0, s0
	s_delay_alu instid0(VALU_DEP_1) | instskip(NEXT) | instid1(VALU_DEP_2)
	v_xor_b32_e32 v24, v19, v14
	v_xor_b32_e32 v20, v18, v14
	;; [unrolled: 1-line block ×3, first 2 shown]
	s_delay_alu instid0(TRANS32_DEP_1) | instskip(NEXT) | instid1(SALU_CYCLE_3)
	s_mul_f32 s0, s0, 0x5f7ffffc
	s_mul_f32 s2, s0, 0x2f800000
	s_delay_alu instid0(SALU_CYCLE_3) | instskip(NEXT) | instid1(SALU_CYCLE_3)
	s_trunc_f32 s2, s2
	s_fmamk_f32 s0, s2, 0xcf800000, s0
	s_cvt_u32_f32 s39, s2
	s_delay_alu instid0(SALU_CYCLE_2) | instskip(NEXT) | instid1(SALU_CYCLE_3)
	s_cvt_u32_f32 s38, s0
	s_mul_u64 s[42:43], s[40:41], s[38:39]
	s_delay_alu instid0(SALU_CYCLE_1)
	s_mul_hi_u32 s45, s38, s43
	s_mul_i32 s44, s38, s43
	s_mul_hi_u32 s2, s38, s42
	s_mul_i32 s27, s39, s42
	s_add_nc_u64 s[44:45], s[2:3], s[44:45]
	s_mul_hi_u32 s0, s39, s42
	s_mul_hi_u32 s29, s39, s43
	s_add_co_u32 s2, s44, s27
	s_add_co_ci_u32 s2, s45, s0
	s_mul_i32 s42, s39, s43
	s_add_co_ci_u32 s43, s29, 0
	s_delay_alu instid0(SALU_CYCLE_1) | instskip(NEXT) | instid1(SALU_CYCLE_1)
	s_add_nc_u64 s[42:43], s[2:3], s[42:43]
	s_add_co_u32 s38, s38, s42
	s_cselect_b32 s0, -1, 0
	s_delay_alu instid0(SALU_CYCLE_1) | instskip(SKIP_1) | instid1(SALU_CYCLE_1)
	s_cmp_lg_u32 s0, 0
	s_add_co_ci_u32 s39, s39, s43
	s_mul_u64 s[40:41], s[40:41], s[38:39]
	s_delay_alu instid0(SALU_CYCLE_1)
	s_mul_hi_u32 s43, s38, s41
	s_mul_i32 s42, s38, s41
	s_mul_hi_u32 s2, s38, s40
	s_mul_i32 s27, s39, s40
	s_add_nc_u64 s[42:43], s[2:3], s[42:43]
	s_mul_hi_u32 s0, s39, s40
	s_mul_hi_u32 s29, s39, s41
	s_add_co_u32 s2, s42, s27
	s_add_co_ci_u32 s2, s43, s0
	s_mul_i32 s40, s39, s41
	s_add_co_ci_u32 s41, s29, 0
	s_delay_alu instid0(SALU_CYCLE_1) | instskip(NEXT) | instid1(SALU_CYCLE_1)
	s_add_nc_u64 s[40:41], s[2:3], s[40:41]
	s_add_co_u32 s0, s38, s40
	s_cselect_b32 s2, -1, 0
	v_mul_hi_u32 v28, v20, s0
	s_cmp_lg_u32 s2, 0
	s_add_co_ci_u32 s2, s39, s41
	s_and_b64 s[38:39], s[0:1], s[22:23]
	v_mul_u64_e32 v[22:23], s[2:3], v[20:21]
	v_mul_u64_e32 v[18:19], s[38:39], v[24:25]
	;; [unrolled: 1-line block ×3, first 2 shown]
	s_delay_alu instid0(VALU_DEP_3) | instskip(NEXT) | instid1(VALU_DEP_1)
	v_add_nc_u64_e32 v[22:23], v[28:29], v[22:23]
	v_add_co_u32 v3, vcc_lo, v22, v18
	s_delay_alu instid0(VALU_DEP_2) | instskip(NEXT) | instid1(VALU_DEP_4)
	v_add_co_ci_u32_e32 v28, vcc_lo, v23, v19, vcc_lo
	v_add_co_ci_u32_e32 v27, vcc_lo, 0, v27, vcc_lo
	s_delay_alu instid0(VALU_DEP_1) | instskip(NEXT) | instid1(VALU_DEP_1)
	v_add_nc_u64_e32 v[18:19], v[28:29], v[26:27]
	v_mul_u64_e32 v[22:23], s[30:31], v[18:19]
	s_delay_alu instid0(VALU_DEP_1) | instskip(NEXT) | instid1(VALU_DEP_2)
	v_sub_nc_u32_e32 v3, v24, v23
	v_sub_co_u32 v13, vcc_lo, v20, v22
	s_delay_alu instid0(VALU_DEP_1) | instskip(NEXT) | instid1(VALU_DEP_3)
	v_sub_co_ci_u32_e64 v17, null, v24, v23, vcc_lo
	v_subrev_co_ci_u32_e64 v3, null, s31, v3, vcc_lo
	s_delay_alu instid0(VALU_DEP_3) | instskip(SKIP_1) | instid1(VALU_DEP_3)
	v_sub_co_u32 v15, s0, v13, s30
	v_add_nc_u64_e32 v[22:23], 1, v[18:19]
	v_subrev_co_ci_u32_e64 v3, null, 0, v3, s0
	s_delay_alu instid0(VALU_DEP_3) | instskip(SKIP_1) | instid1(VALU_DEP_3)
	v_cmp_le_u32_e32 vcc_lo, s30, v15
	v_cndmask_b32_e64 v15, 0, -1, vcc_lo
	v_cmp_le_u32_e32 vcc_lo, s31, v3
	v_cndmask_b32_e64 v20, 0, -1, vcc_lo
	v_cmp_le_u32_e32 vcc_lo, s30, v13
	v_cndmask_b32_e64 v13, 0, -1, vcc_lo
	v_cmp_le_u32_e32 vcc_lo, s31, v17
	v_cndmask_b32_e64 v24, 0, -1, vcc_lo
	v_cmp_eq_u32_e32 vcc_lo, s31, v3
	v_cndmask_b32_e32 v3, v20, v15, vcc_lo
	v_cmp_eq_u32_e32 vcc_lo, s31, v17
	v_add_nc_u64_e32 v[20:21], 2, v[18:19]
	v_dual_mov_b32 v15, v14 :: v_dual_cndmask_b32 v13, v24, v13, vcc_lo
	s_delay_alu instid0(VALU_DEP_4) | instskip(NEXT) | instid1(VALU_DEP_2)
	v_cmp_ne_u32_e32 vcc_lo, 0, v3
	v_cmp_ne_u32_e64 s0, 0, v13
	s_delay_alu instid0(VALU_DEP_4) | instskip(NEXT) | instid1(VALU_DEP_1)
	v_dual_cndmask_b32 v3, v23, v21, vcc_lo :: v_dual_cndmask_b32 v13, v22, v20, vcc_lo
	v_dual_cndmask_b32 v3, v19, v3, s0 :: v_dual_cndmask_b32 v13, v18, v13, s0
	s_delay_alu instid0(VALU_DEP_1) | instskip(NEXT) | instid1(VALU_DEP_2)
	v_xor_b32_e32 v19, v3, v14
	v_xor_b32_e32 v18, v13, v14
	s_delay_alu instid0(VALU_DEP_1)
	v_sub_nc_u64_e32 v[14:15], v[18:19], v[14:15]
.LBB3_13:                               ;   in Loop: Header=BB3_2 Depth=1
	s_and_not1_saveexec_b32 s0, s25
	s_cbranch_execz .LBB3_15
; %bb.14:                               ;   in Loop: Header=BB3_2 Depth=1
	v_cvt_f32_u32_e32 v3, s10
	s_sub_co_i32 s2, 0, s10
	s_delay_alu instid0(VALU_DEP_1) | instskip(SKIP_1) | instid1(TRANS32_DEP_1)
	v_rcp_iflag_f32_e32 v3, v3
	v_nop
	v_mul_f32_e32 v3, 0x4f7ffffe, v3
	s_delay_alu instid0(VALU_DEP_1) | instskip(NEXT) | instid1(VALU_DEP_1)
	v_cvt_u32_f32_e32 v3, v3
	v_mul_lo_u32 v13, s2, v3
	s_delay_alu instid0(VALU_DEP_1) | instskip(NEXT) | instid1(VALU_DEP_1)
	v_mul_hi_u32 v13, v3, v13
	v_add_nc_u32_e32 v3, v3, v13
	s_delay_alu instid0(VALU_DEP_1) | instskip(NEXT) | instid1(VALU_DEP_1)
	v_mul_hi_u32 v3, v12, v3
	v_mul_lo_u32 v13, v3, s10
	s_delay_alu instid0(VALU_DEP_1) | instskip(NEXT) | instid1(VALU_DEP_1)
	v_dual_add_nc_u32 v14, 1, v3 :: v_dual_sub_nc_u32 v13, v12, v13
	v_subrev_nc_u32_e32 v15, s10, v13
	v_cmp_le_u32_e32 vcc_lo, s10, v13
	s_delay_alu instid0(VALU_DEP_2) | instskip(NEXT) | instid1(VALU_DEP_1)
	v_dual_cndmask_b32 v13, v13, v15, vcc_lo :: v_dual_cndmask_b32 v3, v3, v14, vcc_lo
	v_cmp_le_u32_e32 vcc_lo, s10, v13
	s_delay_alu instid0(VALU_DEP_2) | instskip(NEXT) | instid1(VALU_DEP_1)
	v_add_nc_u32_e32 v14, 1, v3
	v_cndmask_b32_e32 v14, v3, v14, vcc_lo
.LBB3_15:                               ;   in Loop: Header=BB3_2 Depth=1
	s_or_b32 exec_lo, exec_lo, s0
	v_lshl_add_u64 v[10:11], v[10:11], 3, s[6:7]
	s_delay_alu instid0(VALU_DEP_2)
	v_mul_lo_u32 v3, v14, s10
	v_add_nc_u64_e32 v[0:1], s[18:19], v[0:1]
	v_add_nc_u64_e32 v[6:7], s[20:21], v[6:7]
	s_and_not1_b32 s0, s35, exec_lo
	global_load_b64 v[10:11], v[10:11], off
	s_and_not1_b32 s34, s34, exec_lo
	v_cmp_le_i64_e32 vcc_lo, s[4:5], v[0:1]
	v_dual_sub_nc_u32 v12, v12, v3 :: v_dual_ashrrev_i32 v3, 31, v14
	s_and_b32 s2, vcc_lo, exec_lo
	s_delay_alu instid0(VALU_DEP_1) | instskip(SKIP_1) | instid1(VALU_DEP_1)
	v_ashrrev_i32_e32 v13, 31, v12
	s_or_b32 s35, s0, s2
	v_mad_nc_u64_u32 v[12:13], v14, s10, v[12:13]
	s_delay_alu instid0(VALU_DEP_1) | instskip(NEXT) | instid1(VALU_DEP_1)
	v_mad_u32 v3, v3, s10, v13
	v_mad_u32 v13, v14, s11, v3
	s_delay_alu instid0(VALU_DEP_1) | instskip(NEXT) | instid1(VALU_DEP_1)
	v_mul_u64_e32 v[12:13], s[16:17], v[12:13]
	v_lshl_add_u64 v[4:5], v[12:13], 3, v[4:5]
	s_delay_alu instid0(VALU_DEP_1)
	v_lshl_add_u64 v[8:9], v[8:9], 3, v[4:5]
	s_wait_loadcnt 0x0
	global_store_b64 v[8:9], v[10:11], off
.LBB3_16:                               ;   in Loop: Header=BB3_2 Depth=1
	s_wait_xcnt 0x0
	s_or_b32 exec_lo, exec_lo, s36
	s_delay_alu instid0(SALU_CYCLE_1) | instskip(NEXT) | instid1(SALU_CYCLE_1)
	s_and_b32 s0, exec_lo, s35
	s_or_b32 s1, s0, s1
	s_and_not1_b32 s0, s33, exec_lo
	s_and_b32 s2, s34, exec_lo
	s_delay_alu instid0(SALU_CYCLE_1)
	s_or_b32 s33, s0, s2
	s_and_not1_b32 exec_lo, exec_lo, s1
	s_cbranch_execnz .LBB3_2
; %bb.17:
	s_or_b32 exec_lo, exec_lo, s1
	s_and_saveexec_b32 s0, s33
	s_delay_alu instid0(SALU_CYCLE_1)
	s_xor_b32 s0, exec_lo, s0
	s_cbranch_execnz .LBB3_19
.LBB3_18:
	s_endpgm
.LBB3_19:
	s_trap 2
	; divergent unreachable
	s_endpgm
	.section	.rodata,"a",@progbits
	.p2align	6, 0x0
	.amdhsa_kernel _ZN2at6native30max_unpooling2d_forward_kernelIlEEvlPKT_PKllllllPS2_
		.amdhsa_group_segment_fixed_size 0
		.amdhsa_private_segment_fixed_size 0
		.amdhsa_kernarg_size 328
		.amdhsa_user_sgpr_count 2
		.amdhsa_user_sgpr_dispatch_ptr 0
		.amdhsa_user_sgpr_queue_ptr 0
		.amdhsa_user_sgpr_kernarg_segment_ptr 1
		.amdhsa_user_sgpr_dispatch_id 0
		.amdhsa_user_sgpr_kernarg_preload_length 0
		.amdhsa_user_sgpr_kernarg_preload_offset 0
		.amdhsa_user_sgpr_private_segment_size 0
		.amdhsa_wavefront_size32 1
		.amdhsa_uses_dynamic_stack 0
		.amdhsa_enable_private_segment 0
		.amdhsa_system_sgpr_workgroup_id_x 1
		.amdhsa_system_sgpr_workgroup_id_y 0
		.amdhsa_system_sgpr_workgroup_id_z 0
		.amdhsa_system_sgpr_workgroup_info 0
		.amdhsa_system_vgpr_workitem_id 0
		.amdhsa_next_free_vgpr 30
		.amdhsa_next_free_sgpr 46
		.amdhsa_named_barrier_count 0
		.amdhsa_reserve_vcc 1
		.amdhsa_float_round_mode_32 0
		.amdhsa_float_round_mode_16_64 0
		.amdhsa_float_denorm_mode_32 3
		.amdhsa_float_denorm_mode_16_64 3
		.amdhsa_fp16_overflow 0
		.amdhsa_memory_ordered 1
		.amdhsa_forward_progress 1
		.amdhsa_inst_pref_size 22
		.amdhsa_round_robin_scheduling 0
		.amdhsa_exception_fp_ieee_invalid_op 0
		.amdhsa_exception_fp_denorm_src 0
		.amdhsa_exception_fp_ieee_div_zero 0
		.amdhsa_exception_fp_ieee_overflow 0
		.amdhsa_exception_fp_ieee_underflow 0
		.amdhsa_exception_fp_ieee_inexact 0
		.amdhsa_exception_int_div_zero 0
	.end_amdhsa_kernel
	.section	.text._ZN2at6native30max_unpooling2d_forward_kernelIlEEvlPKT_PKllllllPS2_,"axG",@progbits,_ZN2at6native30max_unpooling2d_forward_kernelIlEEvlPKT_PKllllllPS2_,comdat
.Lfunc_end3:
	.size	_ZN2at6native30max_unpooling2d_forward_kernelIlEEvlPKT_PKllllllPS2_, .Lfunc_end3-_ZN2at6native30max_unpooling2d_forward_kernelIlEEvlPKT_PKllllllPS2_
                                        ; -- End function
	.set _ZN2at6native30max_unpooling2d_forward_kernelIlEEvlPKT_PKllllllPS2_.num_vgpr, 30
	.set _ZN2at6native30max_unpooling2d_forward_kernelIlEEvlPKT_PKllllllPS2_.num_agpr, 0
	.set _ZN2at6native30max_unpooling2d_forward_kernelIlEEvlPKT_PKllllllPS2_.numbered_sgpr, 46
	.set _ZN2at6native30max_unpooling2d_forward_kernelIlEEvlPKT_PKllllllPS2_.num_named_barrier, 0
	.set _ZN2at6native30max_unpooling2d_forward_kernelIlEEvlPKT_PKllllllPS2_.private_seg_size, 0
	.set _ZN2at6native30max_unpooling2d_forward_kernelIlEEvlPKT_PKllllllPS2_.uses_vcc, 1
	.set _ZN2at6native30max_unpooling2d_forward_kernelIlEEvlPKT_PKllllllPS2_.uses_flat_scratch, 0
	.set _ZN2at6native30max_unpooling2d_forward_kernelIlEEvlPKT_PKllllllPS2_.has_dyn_sized_stack, 0
	.set _ZN2at6native30max_unpooling2d_forward_kernelIlEEvlPKT_PKllllllPS2_.has_recursion, 0
	.set _ZN2at6native30max_unpooling2d_forward_kernelIlEEvlPKT_PKllllllPS2_.has_indirect_call, 0
	.section	.AMDGPU.csdata,"",@progbits
; Kernel info:
; codeLenInByte = 2700
; TotalNumSgprs: 48
; NumVgprs: 30
; ScratchSize: 0
; MemoryBound: 0
; FloatMode: 240
; IeeeMode: 1
; LDSByteSize: 0 bytes/workgroup (compile time only)
; SGPRBlocks: 0
; VGPRBlocks: 1
; NumSGPRsForWavesPerEU: 48
; NumVGPRsForWavesPerEU: 30
; NamedBarCnt: 0
; Occupancy: 16
; WaveLimiterHint : 1
; COMPUTE_PGM_RSRC2:SCRATCH_EN: 0
; COMPUTE_PGM_RSRC2:USER_SGPR: 2
; COMPUTE_PGM_RSRC2:TRAP_HANDLER: 0
; COMPUTE_PGM_RSRC2:TGID_X_EN: 1
; COMPUTE_PGM_RSRC2:TGID_Y_EN: 0
; COMPUTE_PGM_RSRC2:TGID_Z_EN: 0
; COMPUTE_PGM_RSRC2:TIDIG_COMP_CNT: 0
	.section	.text._ZN2at6native30max_unpooling2d_forward_kernelIsEEvlPKT_PKllllllPS2_,"axG",@progbits,_ZN2at6native30max_unpooling2d_forward_kernelIsEEvlPKT_PKllllllPS2_,comdat
	.protected	_ZN2at6native30max_unpooling2d_forward_kernelIsEEvlPKT_PKllllllPS2_ ; -- Begin function _ZN2at6native30max_unpooling2d_forward_kernelIsEEvlPKT_PKllllllPS2_
	.globl	_ZN2at6native30max_unpooling2d_forward_kernelIsEEvlPKT_PKllllllPS2_
	.p2align	8
	.type	_ZN2at6native30max_unpooling2d_forward_kernelIsEEvlPKT_PKllllllPS2_,@function
_ZN2at6native30max_unpooling2d_forward_kernelIsEEvlPKT_PKllllllPS2_: ; @_ZN2at6native30max_unpooling2d_forward_kernelIsEEvlPKT_PKllllllPS2_
; %bb.0:
	s_load_b32 s2, s[0:1], 0x54
	s_bfe_u32 s4, ttmp6, 0x4000c
	v_mov_b32_e32 v2, 0
	s_add_co_i32 s21, s4, 1
	s_load_b512 s[4:19], s[0:1], 0x0
	s_and_b32 s3, ttmp6, 15
	s_mul_i32 s21, ttmp9, s21
	s_getreg_b32 s20, hwreg(HW_REG_IB_STS2, 6, 4)
	v_mov_b32_e32 v1, v2
	s_add_co_i32 s3, s3, s21
	s_wait_kmcnt 0x0
	s_and_b32 s2, s2, 0xffff
	s_cmp_eq_u32 s20, 0
	s_mov_b32 s20, exec_lo
	s_cselect_b32 s3, ttmp9, s3
	s_delay_alu instid0(SALU_CYCLE_1) | instskip(SKIP_1) | instid1(VALU_DEP_1)
	v_mad_nc_u64_u32 v[0:1], s2, s3, v[0:1]
	s_mov_b32 s3, 0
	v_cmpx_gt_i64_e64 s[4:5], v[0:1]
	s_cbranch_execz .LBB4_18
; %bb.1:
	v_cvt_f32_u32_e32 v3, s14
	s_sub_co_i32 s22, 0, s14
	s_add_nc_u64 s[20:21], s[0:1], 0x48
	s_load_b64 s[0:1], s[0:1], 0x40
	s_mul_u64 s[16:17], s[18:19], s[16:17]
	v_rcp_iflag_f32_e32 v3, v3
	s_load_b32 s21, s[20:21], 0x0
	s_mov_b32 s19, s3
	s_wait_xcnt 0x0
	s_mov_b32 s20, s3
	s_ashr_i32 s24, s15, 31
	s_ashr_i32 s26, s13, 31
                                        ; implicit-def: $sgpr33
                                        ; implicit-def: $sgpr35
                                        ; implicit-def: $sgpr34
	v_nop
	v_mul_f32_e32 v3, 0x4f7ffffe, v3
	s_delay_alu instid0(VALU_DEP_1) | instskip(NEXT) | instid1(VALU_DEP_1)
	v_cvt_u32_f32_e32 v6, v3
	v_mul_lo_u32 v3, s22, v6
	s_wait_kmcnt 0x0
	v_mov_b64_e32 v[4:5], s[0:1]
	s_mov_b64 s[22:23], 0xffffffff
	s_mov_b32 s1, 0
	s_mul_i32 s18, s21, s2
	s_delay_alu instid0(SALU_CYCLE_1) | instskip(NEXT) | instid1(VALU_DEP_2)
	s_mov_b32 s21, s18
	v_mul_hi_u32 v7, v6, v3
	s_delay_alu instid0(VALU_DEP_1) | instskip(NEXT) | instid1(VALU_DEP_1)
	v_dual_mov_b32 v3, v0 :: v_dual_add_nc_u32 v16, v6, v7
	v_mov_b64_e32 v[6:7], v[2:3]
.LBB4_2:                                ; =>This Inner Loop Header: Depth=1
	s_delay_alu instid0(VALU_DEP_1) | instskip(SKIP_2) | instid1(VALU_DEP_1)
	v_ashrrev_i64 v[8:9], 29, v[6:7]
	s_or_b32 s34, s34, exec_lo
	s_or_b32 s35, s35, exec_lo
	v_add_nc_u64_e32 v[8:9], s[8:9], v[8:9]
	global_load_b64 v[8:9], v[8:9], off
	s_wait_loadcnt 0x0
	s_wait_xcnt 0x0
	v_ashrrev_i32_e32 v9, 31, v8
	v_cmp_lt_i32_e64 s0, -1, v8
	s_delay_alu instid0(VALU_DEP_2) | instskip(SKIP_1) | instid1(SALU_CYCLE_1)
	v_cmp_gt_i64_e32 vcc_lo, s[16:17], v[8:9]
	s_and_b32 s0, s0, vcc_lo
	s_and_saveexec_b32 s36, s0
	s_cbranch_execz .LBB4_16
; %bb.3:                                ;   in Loop: Header=BB4_2 Depth=1
	v_dual_mov_b32 v10, v7 :: v_dual_ashrrev_i32 v11, 31, v7
                                        ; implicit-def: $vgpr14_vgpr15
	s_mov_b32 s0, exec_lo
	s_delay_alu instid0(VALU_DEP_1) | instskip(NEXT) | instid1(VALU_DEP_1)
	v_or_b32_e32 v3, s15, v11
	v_cmpx_ne_u64_e32 0, v[2:3]
	s_xor_b32 s27, exec_lo, s0
	s_cbranch_execz .LBB4_5
; %bb.4:                                ;   in Loop: Header=BB4_2 Depth=1
	s_mov_b32 s25, s24
	v_dual_mov_b32 v19, v2 :: v_dual_ashrrev_i32 v12, 31, v11
	s_add_nc_u64 s[28:29], s[14:15], s[24:25]
	v_mov_b32_e32 v27, v2
	s_xor_b64 s[28:29], s[28:29], s[24:25]
	s_delay_alu instid0(VALU_DEP_2) | instskip(SKIP_3) | instid1(VALU_DEP_1)
	v_mov_b32_e32 v13, v12
	s_cvt_f32_u32 s0, s28
	s_cvt_f32_u32 s2, s29
	s_sub_nc_u64 s[38:39], 0, s[28:29]
	v_add_nc_u64_e32 v[14:15], v[10:11], v[12:13]
	s_delay_alu instid0(SALU_CYCLE_1) | instskip(SKIP_1) | instid1(SALU_CYCLE_2)
	s_fmamk_f32 s0, s2, 0x4f800000, s0
	v_mov_b32_e32 v23, v2
	v_s_rcp_f32 s0, s0
	s_delay_alu instid0(VALU_DEP_2) | instskip(NEXT) | instid1(VALU_DEP_3)
	v_xor_b32_e32 v18, v14, v12
	v_xor_b32_e32 v22, v15, v12
	;; [unrolled: 1-line block ×3, first 2 shown]
	s_delay_alu instid0(TRANS32_DEP_1) | instskip(NEXT) | instid1(SALU_CYCLE_3)
	s_mul_f32 s0, s0, 0x5f7ffffc
	s_mul_f32 s2, s0, 0x2f800000
	s_delay_alu instid0(SALU_CYCLE_3) | instskip(NEXT) | instid1(SALU_CYCLE_3)
	s_trunc_f32 s2, s2
	s_fmamk_f32 s0, s2, 0xcf800000, s0
	s_cvt_u32_f32 s31, s2
	s_delay_alu instid0(SALU_CYCLE_2) | instskip(NEXT) | instid1(SALU_CYCLE_3)
	s_cvt_u32_f32 s30, s0
	s_mul_u64 s[40:41], s[38:39], s[30:31]
	s_delay_alu instid0(SALU_CYCLE_1)
	s_mul_hi_u32 s43, s30, s41
	s_mul_i32 s42, s30, s41
	s_mul_hi_u32 s2, s30, s40
	s_mul_i32 s25, s31, s40
	s_add_nc_u64 s[42:43], s[2:3], s[42:43]
	s_mul_hi_u32 s0, s31, s40
	s_mul_hi_u32 s37, s31, s41
	s_add_co_u32 s2, s42, s25
	s_add_co_ci_u32 s2, s43, s0
	s_mul_i32 s40, s31, s41
	s_add_co_ci_u32 s41, s37, 0
	s_delay_alu instid0(SALU_CYCLE_1) | instskip(NEXT) | instid1(SALU_CYCLE_1)
	s_add_nc_u64 s[40:41], s[2:3], s[40:41]
	s_add_co_u32 s30, s30, s40
	s_cselect_b32 s0, -1, 0
	s_delay_alu instid0(SALU_CYCLE_1) | instskip(SKIP_1) | instid1(SALU_CYCLE_1)
	s_cmp_lg_u32 s0, 0
	s_add_co_ci_u32 s31, s31, s41
	s_mul_u64 s[38:39], s[38:39], s[30:31]
	s_delay_alu instid0(SALU_CYCLE_1)
	s_mul_hi_u32 s41, s30, s39
	s_mul_i32 s40, s30, s39
	s_mul_hi_u32 s2, s30, s38
	s_mul_i32 s25, s31, s38
	s_add_nc_u64 s[40:41], s[2:3], s[40:41]
	s_mul_hi_u32 s0, s31, s38
	s_mul_hi_u32 s37, s31, s39
	s_add_co_u32 s2, s40, s25
	s_add_co_ci_u32 s2, s41, s0
	s_mul_i32 s38, s31, s39
	s_add_co_ci_u32 s39, s37, 0
	s_delay_alu instid0(SALU_CYCLE_1) | instskip(NEXT) | instid1(SALU_CYCLE_1)
	s_add_nc_u64 s[38:39], s[2:3], s[38:39]
	s_add_co_u32 s0, s30, s38
	s_cselect_b32 s2, -1, 0
	v_mul_hi_u32 v26, v18, s0
	s_cmp_lg_u32 s2, 0
	s_add_co_ci_u32 s2, s31, s39
	s_and_b64 s[30:31], s[0:1], s[22:23]
	v_mul_u64_e32 v[20:21], s[2:3], v[18:19]
	v_mul_u64_e32 v[14:15], s[30:31], v[22:23]
	;; [unrolled: 1-line block ×3, first 2 shown]
	s_delay_alu instid0(VALU_DEP_3) | instskip(NEXT) | instid1(VALU_DEP_1)
	v_add_nc_u64_e32 v[20:21], v[26:27], v[20:21]
	v_add_co_u32 v3, vcc_lo, v20, v14
	s_delay_alu instid0(VALU_DEP_2) | instskip(NEXT) | instid1(VALU_DEP_4)
	v_add_co_ci_u32_e32 v26, vcc_lo, v21, v15, vcc_lo
	v_add_co_ci_u32_e32 v25, vcc_lo, 0, v25, vcc_lo
	s_delay_alu instid0(VALU_DEP_1) | instskip(NEXT) | instid1(VALU_DEP_1)
	v_add_nc_u64_e32 v[14:15], v[26:27], v[24:25]
	v_mul_u64_e32 v[20:21], s[28:29], v[14:15]
	s_delay_alu instid0(VALU_DEP_1) | instskip(NEXT) | instid1(VALU_DEP_2)
	v_sub_nc_u32_e32 v3, v22, v21
	v_sub_co_u32 v13, vcc_lo, v18, v20
	s_delay_alu instid0(VALU_DEP_1) | instskip(NEXT) | instid1(VALU_DEP_3)
	v_sub_co_ci_u32_e64 v22, null, v22, v21, vcc_lo
	v_subrev_co_ci_u32_e64 v3, null, s29, v3, vcc_lo
	s_delay_alu instid0(VALU_DEP_3) | instskip(SKIP_1) | instid1(VALU_DEP_3)
	v_sub_co_u32 v17, s0, v13, s28
	v_add_nc_u64_e32 v[20:21], 1, v[14:15]
	v_subrev_co_ci_u32_e64 v3, null, 0, v3, s0
	s_delay_alu instid0(VALU_DEP_3) | instskip(SKIP_1) | instid1(VALU_DEP_3)
	v_cmp_le_u32_e32 vcc_lo, s28, v17
	v_cndmask_b32_e64 v17, 0, -1, vcc_lo
	v_cmp_le_u32_e32 vcc_lo, s29, v3
	v_cndmask_b32_e64 v18, 0, -1, vcc_lo
	;; [unrolled: 2-line block ×4, first 2 shown]
	v_cmp_eq_u32_e32 vcc_lo, s29, v3
	v_cndmask_b32_e32 v3, v18, v17, vcc_lo
	v_cmp_eq_u32_e32 vcc_lo, s29, v22
	v_add_nc_u64_e32 v[18:19], 2, v[14:15]
	v_cndmask_b32_e32 v13, v23, v13, vcc_lo
	s_delay_alu instid0(VALU_DEP_4) | instskip(NEXT) | instid1(VALU_DEP_2)
	v_cmp_ne_u32_e32 vcc_lo, 0, v3
	v_cmp_ne_u32_e64 s0, 0, v13
	s_delay_alu instid0(VALU_DEP_4) | instskip(NEXT) | instid1(VALU_DEP_1)
	v_dual_cndmask_b32 v13, v20, v18, vcc_lo :: v_dual_cndmask_b32 v3, v21, v19, vcc_lo
	v_dual_cndmask_b32 v14, v14, v13, s0 :: v_dual_cndmask_b32 v3, v15, v3, s0
	s_delay_alu instid0(VALU_DEP_1) | instskip(NEXT) | instid1(VALU_DEP_2)
	v_dual_mov_b32 v13, v12 :: v_dual_bitop2_b32 v14, v14, v12 bitop3:0x14
	v_xor_b32_e32 v15, v3, v12
	s_delay_alu instid0(VALU_DEP_1)
	v_sub_nc_u64_e32 v[14:15], v[14:15], v[12:13]
.LBB4_5:                                ;   in Loop: Header=BB4_2 Depth=1
	s_and_not1_saveexec_b32 s0, s27
	s_cbranch_execz .LBB4_7
; %bb.6:                                ;   in Loop: Header=BB4_2 Depth=1
	v_mul_hi_u32 v3, v7, v16
	v_mov_b32_e32 v15, v2
	s_delay_alu instid0(VALU_DEP_2) | instskip(NEXT) | instid1(VALU_DEP_1)
	v_mul_lo_u32 v12, v3, s14
	v_dual_add_nc_u32 v13, 1, v3 :: v_dual_sub_nc_u32 v12, v7, v12
	s_delay_alu instid0(VALU_DEP_1) | instskip(SKIP_1) | instid1(VALU_DEP_2)
	v_subrev_nc_u32_e32 v14, s14, v12
	v_cmp_le_u32_e32 vcc_lo, s14, v12
	v_dual_cndmask_b32 v12, v12, v14 :: v_dual_cndmask_b32 v3, v3, v13
	s_delay_alu instid0(VALU_DEP_1) | instskip(NEXT) | instid1(VALU_DEP_2)
	v_cmp_le_u32_e32 vcc_lo, s14, v12
	v_add_nc_u32_e32 v13, 1, v3
	s_delay_alu instid0(VALU_DEP_1)
	v_cndmask_b32_e32 v14, v3, v13, vcc_lo
.LBB4_7:                                ;   in Loop: Header=BB4_2 Depth=1
	s_or_b32 exec_lo, exec_lo, s0
	s_delay_alu instid0(VALU_DEP_1) | instskip(SKIP_1) | instid1(VALU_DEP_1)
	v_or_b32_e32 v3, s13, v15
                                        ; implicit-def: $vgpr12_vgpr13
	s_mov_b32 s0, exec_lo
	v_cmpx_ne_u64_e32 0, v[2:3]
	s_xor_b32 s25, exec_lo, s0
	s_cbranch_execz .LBB4_9
; %bb.8:                                ;   in Loop: Header=BB4_2 Depth=1
	s_mov_b32 s27, s26
	v_dual_mov_b32 v19, v2 :: v_dual_ashrrev_i32 v12, 31, v15
	s_add_nc_u64 s[28:29], s[12:13], s[26:27]
	v_mov_b32_e32 v27, v2
	s_xor_b64 s[28:29], s[28:29], s[26:27]
	s_delay_alu instid0(VALU_DEP_2) | instskip(SKIP_3) | instid1(VALU_DEP_1)
	v_mov_b32_e32 v13, v12
	s_cvt_f32_u32 s0, s28
	s_cvt_f32_u32 s2, s29
	s_sub_nc_u64 s[38:39], 0, s[28:29]
	v_add_nc_u64_e32 v[14:15], v[14:15], v[12:13]
	s_delay_alu instid0(SALU_CYCLE_1) | instskip(SKIP_1) | instid1(SALU_CYCLE_2)
	s_fmamk_f32 s0, s2, 0x4f800000, s0
	v_mov_b32_e32 v23, v2
	v_s_rcp_f32 s0, s0
	s_delay_alu instid0(VALU_DEP_2) | instskip(NEXT) | instid1(VALU_DEP_3)
	v_xor_b32_e32 v18, v14, v12
	v_xor_b32_e32 v22, v15, v12
	;; [unrolled: 1-line block ×3, first 2 shown]
	s_delay_alu instid0(TRANS32_DEP_1) | instskip(NEXT) | instid1(SALU_CYCLE_3)
	s_mul_f32 s0, s0, 0x5f7ffffc
	s_mul_f32 s2, s0, 0x2f800000
	s_delay_alu instid0(SALU_CYCLE_3) | instskip(NEXT) | instid1(SALU_CYCLE_3)
	s_trunc_f32 s2, s2
	s_fmamk_f32 s0, s2, 0xcf800000, s0
	s_cvt_u32_f32 s31, s2
	s_delay_alu instid0(SALU_CYCLE_2) | instskip(NEXT) | instid1(SALU_CYCLE_3)
	s_cvt_u32_f32 s30, s0
	s_mul_u64 s[40:41], s[38:39], s[30:31]
	s_delay_alu instid0(SALU_CYCLE_1)
	s_mul_hi_u32 s43, s30, s41
	s_mul_i32 s42, s30, s41
	s_mul_hi_u32 s2, s30, s40
	s_mul_i32 s27, s31, s40
	s_add_nc_u64 s[42:43], s[2:3], s[42:43]
	s_mul_hi_u32 s0, s31, s40
	s_mul_hi_u32 s37, s31, s41
	s_add_co_u32 s2, s42, s27
	s_add_co_ci_u32 s2, s43, s0
	s_mul_i32 s40, s31, s41
	s_add_co_ci_u32 s41, s37, 0
	s_delay_alu instid0(SALU_CYCLE_1) | instskip(NEXT) | instid1(SALU_CYCLE_1)
	s_add_nc_u64 s[40:41], s[2:3], s[40:41]
	s_add_co_u32 s30, s30, s40
	s_cselect_b32 s0, -1, 0
	s_delay_alu instid0(SALU_CYCLE_1) | instskip(SKIP_1) | instid1(SALU_CYCLE_1)
	s_cmp_lg_u32 s0, 0
	s_add_co_ci_u32 s31, s31, s41
	s_mul_u64 s[38:39], s[38:39], s[30:31]
	s_delay_alu instid0(SALU_CYCLE_1)
	s_mul_hi_u32 s41, s30, s39
	s_mul_i32 s40, s30, s39
	s_mul_hi_u32 s2, s30, s38
	s_mul_i32 s27, s31, s38
	s_add_nc_u64 s[40:41], s[2:3], s[40:41]
	s_mul_hi_u32 s0, s31, s38
	s_mul_hi_u32 s37, s31, s39
	s_add_co_u32 s2, s40, s27
	s_add_co_ci_u32 s2, s41, s0
	s_mul_i32 s38, s31, s39
	s_add_co_ci_u32 s39, s37, 0
	s_delay_alu instid0(SALU_CYCLE_1) | instskip(NEXT) | instid1(SALU_CYCLE_1)
	s_add_nc_u64 s[38:39], s[2:3], s[38:39]
	s_add_co_u32 s0, s30, s38
	s_cselect_b32 s2, -1, 0
	v_mul_hi_u32 v26, v18, s0
	s_cmp_lg_u32 s2, 0
	s_add_co_ci_u32 s2, s31, s39
	s_and_b64 s[30:31], s[0:1], s[22:23]
	v_mul_u64_e32 v[20:21], s[2:3], v[18:19]
	v_mul_u64_e32 v[14:15], s[30:31], v[22:23]
	;; [unrolled: 1-line block ×3, first 2 shown]
	s_delay_alu instid0(VALU_DEP_3) | instskip(NEXT) | instid1(VALU_DEP_1)
	v_add_nc_u64_e32 v[20:21], v[26:27], v[20:21]
	v_add_co_u32 v3, vcc_lo, v20, v14
	s_delay_alu instid0(VALU_DEP_2) | instskip(NEXT) | instid1(VALU_DEP_4)
	v_add_co_ci_u32_e32 v26, vcc_lo, v21, v15, vcc_lo
	v_add_co_ci_u32_e32 v25, vcc_lo, 0, v25, vcc_lo
	s_delay_alu instid0(VALU_DEP_1) | instskip(NEXT) | instid1(VALU_DEP_1)
	v_add_nc_u64_e32 v[14:15], v[26:27], v[24:25]
	v_mul_u64_e32 v[20:21], s[28:29], v[14:15]
	s_delay_alu instid0(VALU_DEP_1) | instskip(NEXT) | instid1(VALU_DEP_2)
	v_sub_nc_u32_e32 v3, v22, v21
	v_sub_co_u32 v13, vcc_lo, v18, v20
	s_delay_alu instid0(VALU_DEP_1) | instskip(NEXT) | instid1(VALU_DEP_3)
	v_sub_co_ci_u32_e64 v22, null, v22, v21, vcc_lo
	v_subrev_co_ci_u32_e64 v3, null, s29, v3, vcc_lo
	s_delay_alu instid0(VALU_DEP_3) | instskip(SKIP_1) | instid1(VALU_DEP_3)
	v_sub_co_u32 v17, s0, v13, s28
	v_add_nc_u64_e32 v[20:21], 1, v[14:15]
	v_subrev_co_ci_u32_e64 v3, null, 0, v3, s0
	s_delay_alu instid0(VALU_DEP_3) | instskip(SKIP_1) | instid1(VALU_DEP_3)
	v_cmp_le_u32_e32 vcc_lo, s28, v17
	v_cndmask_b32_e64 v17, 0, -1, vcc_lo
	v_cmp_le_u32_e32 vcc_lo, s29, v3
	v_cndmask_b32_e64 v18, 0, -1, vcc_lo
	;; [unrolled: 2-line block ×4, first 2 shown]
	v_cmp_eq_u32_e32 vcc_lo, s29, v3
	v_cndmask_b32_e32 v3, v18, v17, vcc_lo
	v_cmp_eq_u32_e32 vcc_lo, s29, v22
	v_add_nc_u64_e32 v[18:19], 2, v[14:15]
	v_cndmask_b32_e32 v13, v23, v13, vcc_lo
	s_delay_alu instid0(VALU_DEP_4) | instskip(NEXT) | instid1(VALU_DEP_2)
	v_cmp_ne_u32_e32 vcc_lo, 0, v3
	v_cmp_ne_u32_e64 s0, 0, v13
	s_delay_alu instid0(VALU_DEP_4) | instskip(NEXT) | instid1(VALU_DEP_1)
	v_dual_cndmask_b32 v13, v20, v18, vcc_lo :: v_dual_cndmask_b32 v3, v21, v19, vcc_lo
	v_dual_cndmask_b32 v14, v14, v13, s0 :: v_dual_cndmask_b32 v3, v15, v3, s0
	s_delay_alu instid0(VALU_DEP_1) | instskip(NEXT) | instid1(VALU_DEP_2)
	v_dual_mov_b32 v13, v12 :: v_dual_bitop2_b32 v14, v14, v12 bitop3:0x14
	v_xor_b32_e32 v15, v3, v12
	s_delay_alu instid0(VALU_DEP_1)
	v_sub_nc_u64_e32 v[12:13], v[14:15], v[12:13]
                                        ; implicit-def: $vgpr14_vgpr15
.LBB4_9:                                ;   in Loop: Header=BB4_2 Depth=1
	s_and_not1_saveexec_b32 s0, s25
	s_cbranch_execz .LBB4_11
; %bb.10:                               ;   in Loop: Header=BB4_2 Depth=1
	v_cvt_f32_u32_e32 v3, s12
	s_sub_co_i32 s2, 0, s12
	s_delay_alu instid0(VALU_DEP_1) | instskip(SKIP_1) | instid1(TRANS32_DEP_1)
	v_rcp_iflag_f32_e32 v3, v3
	v_nop
	v_mul_f32_e32 v3, 0x4f7ffffe, v3
	s_delay_alu instid0(VALU_DEP_1) | instskip(NEXT) | instid1(VALU_DEP_1)
	v_cvt_u32_f32_e32 v3, v3
	v_mul_lo_u32 v12, s2, v3
	s_delay_alu instid0(VALU_DEP_1) | instskip(NEXT) | instid1(VALU_DEP_1)
	v_mul_hi_u32 v12, v3, v12
	v_add_nc_u32_e32 v3, v3, v12
	s_delay_alu instid0(VALU_DEP_1) | instskip(NEXT) | instid1(VALU_DEP_1)
	v_mul_hi_u32 v3, v14, v3
	v_mul_lo_u32 v12, v3, s12
	s_delay_alu instid0(VALU_DEP_1) | instskip(NEXT) | instid1(VALU_DEP_1)
	v_dual_add_nc_u32 v13, 1, v3 :: v_dual_sub_nc_u32 v12, v14, v12
	v_subrev_nc_u32_e32 v14, s12, v12
	v_cmp_le_u32_e32 vcc_lo, s12, v12
	s_delay_alu instid0(VALU_DEP_2) | instskip(NEXT) | instid1(VALU_DEP_1)
	v_dual_cndmask_b32 v12, v12, v14 :: v_dual_cndmask_b32 v3, v3, v13
	v_cmp_le_u32_e32 vcc_lo, s12, v12
	s_delay_alu instid0(VALU_DEP_2) | instskip(NEXT) | instid1(VALU_DEP_1)
	v_add_nc_u32_e32 v13, 1, v3
	v_dual_cndmask_b32 v12, v3, v13 :: v_dual_mov_b32 v13, v2
.LBB4_11:                               ;   in Loop: Header=BB4_2 Depth=1
	s_or_b32 exec_lo, exec_lo, s0
	s_delay_alu instid0(VALU_DEP_1) | instskip(SKIP_1) | instid1(VALU_DEP_1)
	v_or_b32_e32 v3, s11, v13
                                        ; implicit-def: $vgpr14_vgpr15
	s_mov_b32 s0, exec_lo
	v_cmpx_ne_u64_e32 0, v[2:3]
	s_xor_b32 s25, exec_lo, s0
	s_cbranch_execz .LBB4_13
; %bb.12:                               ;   in Loop: Header=BB4_2 Depth=1
	s_ashr_i32 s28, s11, 31
	v_dual_mov_b32 v21, v2 :: v_dual_ashrrev_i32 v14, 31, v13
	s_mov_b32 s29, s28
	v_mov_b32_e32 v25, v2
	s_add_nc_u64 s[30:31], s[10:11], s[28:29]
	s_delay_alu instid0(VALU_DEP_2)
	v_mov_b32_e32 v15, v14
	s_xor_b64 s[30:31], s[30:31], s[28:29]
	v_mov_b32_e32 v29, v2
	s_cvt_f32_u32 s0, s30
	s_cvt_f32_u32 s2, s31
	s_sub_nc_u64 s[40:41], 0, s[30:31]
	v_add_nc_u64_e32 v[18:19], v[12:13], v[14:15]
	s_delay_alu instid0(SALU_CYCLE_1) | instskip(NEXT) | instid1(SALU_CYCLE_3)
	s_fmamk_f32 s0, s2, 0x4f800000, s0
	v_s_rcp_f32 s0, s0
	s_delay_alu instid0(VALU_DEP_1) | instskip(NEXT) | instid1(VALU_DEP_2)
	v_xor_b32_e32 v24, v19, v14
	v_xor_b32_e32 v20, v18, v14
	;; [unrolled: 1-line block ×3, first 2 shown]
	s_delay_alu instid0(TRANS32_DEP_1) | instskip(NEXT) | instid1(SALU_CYCLE_3)
	s_mul_f32 s0, s0, 0x5f7ffffc
	s_mul_f32 s2, s0, 0x2f800000
	s_delay_alu instid0(SALU_CYCLE_3) | instskip(NEXT) | instid1(SALU_CYCLE_3)
	s_trunc_f32 s2, s2
	s_fmamk_f32 s0, s2, 0xcf800000, s0
	s_cvt_u32_f32 s39, s2
	s_delay_alu instid0(SALU_CYCLE_2) | instskip(NEXT) | instid1(SALU_CYCLE_3)
	s_cvt_u32_f32 s38, s0
	s_mul_u64 s[42:43], s[40:41], s[38:39]
	s_delay_alu instid0(SALU_CYCLE_1)
	s_mul_hi_u32 s45, s38, s43
	s_mul_i32 s44, s38, s43
	s_mul_hi_u32 s2, s38, s42
	s_mul_i32 s27, s39, s42
	s_add_nc_u64 s[44:45], s[2:3], s[44:45]
	s_mul_hi_u32 s0, s39, s42
	s_mul_hi_u32 s29, s39, s43
	s_add_co_u32 s2, s44, s27
	s_add_co_ci_u32 s2, s45, s0
	s_mul_i32 s42, s39, s43
	s_add_co_ci_u32 s43, s29, 0
	s_delay_alu instid0(SALU_CYCLE_1) | instskip(NEXT) | instid1(SALU_CYCLE_1)
	s_add_nc_u64 s[42:43], s[2:3], s[42:43]
	s_add_co_u32 s38, s38, s42
	s_cselect_b32 s0, -1, 0
	s_delay_alu instid0(SALU_CYCLE_1) | instskip(SKIP_1) | instid1(SALU_CYCLE_1)
	s_cmp_lg_u32 s0, 0
	s_add_co_ci_u32 s39, s39, s43
	s_mul_u64 s[40:41], s[40:41], s[38:39]
	s_delay_alu instid0(SALU_CYCLE_1)
	s_mul_hi_u32 s43, s38, s41
	s_mul_i32 s42, s38, s41
	s_mul_hi_u32 s2, s38, s40
	s_mul_i32 s27, s39, s40
	s_add_nc_u64 s[42:43], s[2:3], s[42:43]
	s_mul_hi_u32 s0, s39, s40
	s_mul_hi_u32 s29, s39, s41
	s_add_co_u32 s2, s42, s27
	s_add_co_ci_u32 s2, s43, s0
	s_mul_i32 s40, s39, s41
	s_add_co_ci_u32 s41, s29, 0
	s_delay_alu instid0(SALU_CYCLE_1) | instskip(NEXT) | instid1(SALU_CYCLE_1)
	s_add_nc_u64 s[40:41], s[2:3], s[40:41]
	s_add_co_u32 s0, s38, s40
	s_cselect_b32 s2, -1, 0
	v_mul_hi_u32 v28, v20, s0
	s_cmp_lg_u32 s2, 0
	s_add_co_ci_u32 s2, s39, s41
	s_and_b64 s[38:39], s[0:1], s[22:23]
	v_mul_u64_e32 v[22:23], s[2:3], v[20:21]
	v_mul_u64_e32 v[18:19], s[38:39], v[24:25]
	;; [unrolled: 1-line block ×3, first 2 shown]
	s_delay_alu instid0(VALU_DEP_3) | instskip(NEXT) | instid1(VALU_DEP_1)
	v_add_nc_u64_e32 v[22:23], v[28:29], v[22:23]
	v_add_co_u32 v3, vcc_lo, v22, v18
	s_delay_alu instid0(VALU_DEP_2) | instskip(NEXT) | instid1(VALU_DEP_4)
	v_add_co_ci_u32_e32 v28, vcc_lo, v23, v19, vcc_lo
	v_add_co_ci_u32_e32 v27, vcc_lo, 0, v27, vcc_lo
	s_delay_alu instid0(VALU_DEP_1) | instskip(NEXT) | instid1(VALU_DEP_1)
	v_add_nc_u64_e32 v[18:19], v[28:29], v[26:27]
	v_mul_u64_e32 v[22:23], s[30:31], v[18:19]
	s_delay_alu instid0(VALU_DEP_1) | instskip(NEXT) | instid1(VALU_DEP_2)
	v_sub_nc_u32_e32 v3, v24, v23
	v_sub_co_u32 v13, vcc_lo, v20, v22
	s_delay_alu instid0(VALU_DEP_1) | instskip(NEXT) | instid1(VALU_DEP_3)
	v_sub_co_ci_u32_e64 v17, null, v24, v23, vcc_lo
	v_subrev_co_ci_u32_e64 v3, null, s31, v3, vcc_lo
	s_delay_alu instid0(VALU_DEP_3) | instskip(SKIP_1) | instid1(VALU_DEP_3)
	v_sub_co_u32 v15, s0, v13, s30
	v_add_nc_u64_e32 v[22:23], 1, v[18:19]
	v_subrev_co_ci_u32_e64 v3, null, 0, v3, s0
	s_delay_alu instid0(VALU_DEP_3) | instskip(SKIP_1) | instid1(VALU_DEP_3)
	v_cmp_le_u32_e32 vcc_lo, s30, v15
	v_cndmask_b32_e64 v15, 0, -1, vcc_lo
	v_cmp_le_u32_e32 vcc_lo, s31, v3
	v_cndmask_b32_e64 v20, 0, -1, vcc_lo
	;; [unrolled: 2-line block ×4, first 2 shown]
	v_cmp_eq_u32_e32 vcc_lo, s31, v3
	v_cndmask_b32_e32 v3, v20, v15, vcc_lo
	v_cmp_eq_u32_e32 vcc_lo, s31, v17
	v_add_nc_u64_e32 v[20:21], 2, v[18:19]
	v_dual_mov_b32 v15, v14 :: v_dual_cndmask_b32 v13, v24, v13, vcc_lo
	s_delay_alu instid0(VALU_DEP_4) | instskip(NEXT) | instid1(VALU_DEP_2)
	v_cmp_ne_u32_e32 vcc_lo, 0, v3
	v_cmp_ne_u32_e64 s0, 0, v13
	s_delay_alu instid0(VALU_DEP_4) | instskip(NEXT) | instid1(VALU_DEP_1)
	v_dual_cndmask_b32 v3, v23, v21, vcc_lo :: v_dual_cndmask_b32 v13, v22, v20, vcc_lo
	v_dual_cndmask_b32 v3, v19, v3, s0 :: v_dual_cndmask_b32 v13, v18, v13, s0
	s_delay_alu instid0(VALU_DEP_1) | instskip(NEXT) | instid1(VALU_DEP_2)
	v_xor_b32_e32 v19, v3, v14
	v_xor_b32_e32 v18, v13, v14
	s_delay_alu instid0(VALU_DEP_1)
	v_sub_nc_u64_e32 v[14:15], v[18:19], v[14:15]
.LBB4_13:                               ;   in Loop: Header=BB4_2 Depth=1
	s_and_not1_saveexec_b32 s0, s25
	s_cbranch_execz .LBB4_15
; %bb.14:                               ;   in Loop: Header=BB4_2 Depth=1
	v_cvt_f32_u32_e32 v3, s10
	s_sub_co_i32 s2, 0, s10
	s_delay_alu instid0(VALU_DEP_1) | instskip(SKIP_1) | instid1(TRANS32_DEP_1)
	v_rcp_iflag_f32_e32 v3, v3
	v_nop
	v_mul_f32_e32 v3, 0x4f7ffffe, v3
	s_delay_alu instid0(VALU_DEP_1) | instskip(NEXT) | instid1(VALU_DEP_1)
	v_cvt_u32_f32_e32 v3, v3
	v_mul_lo_u32 v13, s2, v3
	s_delay_alu instid0(VALU_DEP_1) | instskip(NEXT) | instid1(VALU_DEP_1)
	v_mul_hi_u32 v13, v3, v13
	v_add_nc_u32_e32 v3, v3, v13
	s_delay_alu instid0(VALU_DEP_1) | instskip(NEXT) | instid1(VALU_DEP_1)
	v_mul_hi_u32 v3, v12, v3
	v_mul_lo_u32 v13, v3, s10
	s_delay_alu instid0(VALU_DEP_1) | instskip(NEXT) | instid1(VALU_DEP_1)
	v_dual_add_nc_u32 v14, 1, v3 :: v_dual_sub_nc_u32 v13, v12, v13
	v_subrev_nc_u32_e32 v15, s10, v13
	v_cmp_le_u32_e32 vcc_lo, s10, v13
	s_delay_alu instid0(VALU_DEP_2) | instskip(NEXT) | instid1(VALU_DEP_1)
	v_dual_cndmask_b32 v13, v13, v15, vcc_lo :: v_dual_cndmask_b32 v3, v3, v14, vcc_lo
	v_cmp_le_u32_e32 vcc_lo, s10, v13
	s_delay_alu instid0(VALU_DEP_2) | instskip(NEXT) | instid1(VALU_DEP_1)
	v_add_nc_u32_e32 v14, 1, v3
	v_cndmask_b32_e32 v14, v3, v14, vcc_lo
.LBB4_15:                               ;   in Loop: Header=BB4_2 Depth=1
	s_or_b32 exec_lo, exec_lo, s0
	v_lshl_add_u64 v[10:11], v[10:11], 1, s[6:7]
	v_add_nc_u64_e32 v[0:1], s[18:19], v[0:1]
	v_add_nc_u64_e32 v[6:7], s[20:21], v[6:7]
	s_and_not1_b32 s0, s35, exec_lo
	s_and_not1_b32 s34, s34, exec_lo
	global_load_u16 v3, v[10:11], off
	s_wait_xcnt 0x0
	v_mul_lo_u32 v10, v14, s10
	v_cmp_le_i64_e32 vcc_lo, s[4:5], v[0:1]
	s_and_b32 s2, vcc_lo, exec_lo
	s_delay_alu instid0(VALU_DEP_2) | instskip(SKIP_2) | instid1(VALU_DEP_2)
	v_sub_nc_u32_e32 v10, v12, v10
	v_ashrrev_i32_e32 v12, 31, v14
	s_or_b32 s35, s0, s2
	v_ashrrev_i32_e32 v11, 31, v10
	s_delay_alu instid0(VALU_DEP_1) | instskip(NEXT) | instid1(VALU_DEP_1)
	v_mad_nc_u64_u32 v[10:11], v14, s10, v[10:11]
	v_mad_u32 v11, v12, s10, v11
	s_delay_alu instid0(VALU_DEP_1) | instskip(NEXT) | instid1(VALU_DEP_1)
	v_mad_u32 v11, v14, s11, v11
	v_mul_u64_e32 v[10:11], s[16:17], v[10:11]
	s_delay_alu instid0(VALU_DEP_1) | instskip(NEXT) | instid1(VALU_DEP_1)
	v_lshl_add_u64 v[4:5], v[10:11], 1, v[4:5]
	v_lshl_add_u64 v[8:9], v[8:9], 1, v[4:5]
	s_wait_loadcnt 0x0
	global_store_b16 v[8:9], v3, off
.LBB4_16:                               ;   in Loop: Header=BB4_2 Depth=1
	s_wait_xcnt 0x0
	s_or_b32 exec_lo, exec_lo, s36
	s_delay_alu instid0(SALU_CYCLE_1) | instskip(NEXT) | instid1(SALU_CYCLE_1)
	s_and_b32 s0, exec_lo, s35
	s_or_b32 s1, s0, s1
	s_and_not1_b32 s0, s33, exec_lo
	s_and_b32 s2, s34, exec_lo
	s_delay_alu instid0(SALU_CYCLE_1)
	s_or_b32 s33, s0, s2
	s_and_not1_b32 exec_lo, exec_lo, s1
	s_cbranch_execnz .LBB4_2
; %bb.17:
	s_or_b32 exec_lo, exec_lo, s1
	s_and_saveexec_b32 s0, s33
	s_delay_alu instid0(SALU_CYCLE_1)
	s_xor_b32 s0, exec_lo, s0
	s_cbranch_execnz .LBB4_19
.LBB4_18:
	s_endpgm
.LBB4_19:
	s_trap 2
	; divergent unreachable
	s_endpgm
	.section	.rodata,"a",@progbits
	.p2align	6, 0x0
	.amdhsa_kernel _ZN2at6native30max_unpooling2d_forward_kernelIsEEvlPKT_PKllllllPS2_
		.amdhsa_group_segment_fixed_size 0
		.amdhsa_private_segment_fixed_size 0
		.amdhsa_kernarg_size 328
		.amdhsa_user_sgpr_count 2
		.amdhsa_user_sgpr_dispatch_ptr 0
		.amdhsa_user_sgpr_queue_ptr 0
		.amdhsa_user_sgpr_kernarg_segment_ptr 1
		.amdhsa_user_sgpr_dispatch_id 0
		.amdhsa_user_sgpr_kernarg_preload_length 0
		.amdhsa_user_sgpr_kernarg_preload_offset 0
		.amdhsa_user_sgpr_private_segment_size 0
		.amdhsa_wavefront_size32 1
		.amdhsa_uses_dynamic_stack 0
		.amdhsa_enable_private_segment 0
		.amdhsa_system_sgpr_workgroup_id_x 1
		.amdhsa_system_sgpr_workgroup_id_y 0
		.amdhsa_system_sgpr_workgroup_id_z 0
		.amdhsa_system_sgpr_workgroup_info 0
		.amdhsa_system_vgpr_workitem_id 0
		.amdhsa_next_free_vgpr 30
		.amdhsa_next_free_sgpr 46
		.amdhsa_named_barrier_count 0
		.amdhsa_reserve_vcc 1
		.amdhsa_float_round_mode_32 0
		.amdhsa_float_round_mode_16_64 0
		.amdhsa_float_denorm_mode_32 3
		.amdhsa_float_denorm_mode_16_64 3
		.amdhsa_fp16_overflow 0
		.amdhsa_memory_ordered 1
		.amdhsa_forward_progress 1
		.amdhsa_inst_pref_size 22
		.amdhsa_round_robin_scheduling 0
		.amdhsa_exception_fp_ieee_invalid_op 0
		.amdhsa_exception_fp_denorm_src 0
		.amdhsa_exception_fp_ieee_div_zero 0
		.amdhsa_exception_fp_ieee_overflow 0
		.amdhsa_exception_fp_ieee_underflow 0
		.amdhsa_exception_fp_ieee_inexact 0
		.amdhsa_exception_int_div_zero 0
	.end_amdhsa_kernel
	.section	.text._ZN2at6native30max_unpooling2d_forward_kernelIsEEvlPKT_PKllllllPS2_,"axG",@progbits,_ZN2at6native30max_unpooling2d_forward_kernelIsEEvlPKT_PKllllllPS2_,comdat
.Lfunc_end4:
	.size	_ZN2at6native30max_unpooling2d_forward_kernelIsEEvlPKT_PKllllllPS2_, .Lfunc_end4-_ZN2at6native30max_unpooling2d_forward_kernelIsEEvlPKT_PKllllllPS2_
                                        ; -- End function
	.set _ZN2at6native30max_unpooling2d_forward_kernelIsEEvlPKT_PKllllllPS2_.num_vgpr, 30
	.set _ZN2at6native30max_unpooling2d_forward_kernelIsEEvlPKT_PKllllllPS2_.num_agpr, 0
	.set _ZN2at6native30max_unpooling2d_forward_kernelIsEEvlPKT_PKllllllPS2_.numbered_sgpr, 46
	.set _ZN2at6native30max_unpooling2d_forward_kernelIsEEvlPKT_PKllllllPS2_.num_named_barrier, 0
	.set _ZN2at6native30max_unpooling2d_forward_kernelIsEEvlPKT_PKllllllPS2_.private_seg_size, 0
	.set _ZN2at6native30max_unpooling2d_forward_kernelIsEEvlPKT_PKllllllPS2_.uses_vcc, 1
	.set _ZN2at6native30max_unpooling2d_forward_kernelIsEEvlPKT_PKllllllPS2_.uses_flat_scratch, 0
	.set _ZN2at6native30max_unpooling2d_forward_kernelIsEEvlPKT_PKllllllPS2_.has_dyn_sized_stack, 0
	.set _ZN2at6native30max_unpooling2d_forward_kernelIsEEvlPKT_PKllllllPS2_.has_recursion, 0
	.set _ZN2at6native30max_unpooling2d_forward_kernelIsEEvlPKT_PKllllllPS2_.has_indirect_call, 0
	.section	.AMDGPU.csdata,"",@progbits
; Kernel info:
; codeLenInByte = 2696
; TotalNumSgprs: 48
; NumVgprs: 30
; ScratchSize: 0
; MemoryBound: 0
; FloatMode: 240
; IeeeMode: 1
; LDSByteSize: 0 bytes/workgroup (compile time only)
; SGPRBlocks: 0
; VGPRBlocks: 1
; NumSGPRsForWavesPerEU: 48
; NumVGPRsForWavesPerEU: 30
; NamedBarCnt: 0
; Occupancy: 16
; WaveLimiterHint : 1
; COMPUTE_PGM_RSRC2:SCRATCH_EN: 0
; COMPUTE_PGM_RSRC2:USER_SGPR: 2
; COMPUTE_PGM_RSRC2:TRAP_HANDLER: 0
; COMPUTE_PGM_RSRC2:TGID_X_EN: 1
; COMPUTE_PGM_RSRC2:TGID_Y_EN: 0
; COMPUTE_PGM_RSRC2:TGID_Z_EN: 0
; COMPUTE_PGM_RSRC2:TIDIG_COMP_CNT: 0
	.section	.text._ZN2at6native30max_unpooling2d_forward_kernelIdEEvlPKT_PKllllllPS2_,"axG",@progbits,_ZN2at6native30max_unpooling2d_forward_kernelIdEEvlPKT_PKllllllPS2_,comdat
	.protected	_ZN2at6native30max_unpooling2d_forward_kernelIdEEvlPKT_PKllllllPS2_ ; -- Begin function _ZN2at6native30max_unpooling2d_forward_kernelIdEEvlPKT_PKllllllPS2_
	.globl	_ZN2at6native30max_unpooling2d_forward_kernelIdEEvlPKT_PKllllllPS2_
	.p2align	8
	.type	_ZN2at6native30max_unpooling2d_forward_kernelIdEEvlPKT_PKllllllPS2_,@function
_ZN2at6native30max_unpooling2d_forward_kernelIdEEvlPKT_PKllllllPS2_: ; @_ZN2at6native30max_unpooling2d_forward_kernelIdEEvlPKT_PKllllllPS2_
; %bb.0:
	s_load_b32 s2, s[0:1], 0x54
	s_bfe_u32 s4, ttmp6, 0x4000c
	v_mov_b32_e32 v2, 0
	s_add_co_i32 s21, s4, 1
	s_load_b512 s[4:19], s[0:1], 0x0
	s_and_b32 s3, ttmp6, 15
	s_mul_i32 s21, ttmp9, s21
	s_getreg_b32 s20, hwreg(HW_REG_IB_STS2, 6, 4)
	v_mov_b32_e32 v1, v2
	s_add_co_i32 s3, s3, s21
	s_wait_kmcnt 0x0
	s_and_b32 s2, s2, 0xffff
	s_cmp_eq_u32 s20, 0
	s_mov_b32 s20, exec_lo
	s_cselect_b32 s3, ttmp9, s3
	s_delay_alu instid0(SALU_CYCLE_1) | instskip(SKIP_1) | instid1(VALU_DEP_1)
	v_mad_nc_u64_u32 v[0:1], s2, s3, v[0:1]
	s_mov_b32 s3, 0
	v_cmpx_gt_i64_e64 s[4:5], v[0:1]
	s_cbranch_execz .LBB5_18
; %bb.1:
	v_cvt_f32_u32_e32 v3, s14
	s_sub_co_i32 s22, 0, s14
	s_add_nc_u64 s[20:21], s[0:1], 0x48
	s_load_b64 s[0:1], s[0:1], 0x40
	s_mul_u64 s[16:17], s[18:19], s[16:17]
	v_rcp_iflag_f32_e32 v3, v3
	s_load_b32 s21, s[20:21], 0x0
	s_mov_b32 s19, s3
	s_wait_xcnt 0x0
	s_mov_b32 s20, s3
	s_ashr_i32 s24, s15, 31
	s_ashr_i32 s26, s13, 31
                                        ; implicit-def: $sgpr33
                                        ; implicit-def: $sgpr35
                                        ; implicit-def: $sgpr34
	v_nop
	v_mul_f32_e32 v3, 0x4f7ffffe, v3
	s_delay_alu instid0(VALU_DEP_1) | instskip(NEXT) | instid1(VALU_DEP_1)
	v_cvt_u32_f32_e32 v6, v3
	v_mul_lo_u32 v3, s22, v6
	s_wait_kmcnt 0x0
	v_mov_b64_e32 v[4:5], s[0:1]
	s_mov_b64 s[22:23], 0xffffffff
	s_mov_b32 s1, 0
	s_mul_i32 s18, s21, s2
	s_delay_alu instid0(SALU_CYCLE_1) | instskip(NEXT) | instid1(VALU_DEP_2)
	s_mov_b32 s21, s18
	v_mul_hi_u32 v7, v6, v3
	s_delay_alu instid0(VALU_DEP_1) | instskip(NEXT) | instid1(VALU_DEP_1)
	v_dual_mov_b32 v3, v0 :: v_dual_add_nc_u32 v16, v6, v7
	v_mov_b64_e32 v[6:7], v[2:3]
.LBB5_2:                                ; =>This Inner Loop Header: Depth=1
	s_delay_alu instid0(VALU_DEP_1) | instskip(SKIP_2) | instid1(VALU_DEP_1)
	v_ashrrev_i64 v[8:9], 29, v[6:7]
	s_or_b32 s34, s34, exec_lo
	s_or_b32 s35, s35, exec_lo
	v_add_nc_u64_e32 v[8:9], s[8:9], v[8:9]
	global_load_b64 v[8:9], v[8:9], off
	s_wait_loadcnt 0x0
	s_wait_xcnt 0x0
	v_ashrrev_i32_e32 v9, 31, v8
	v_cmp_lt_i32_e64 s0, -1, v8
	s_delay_alu instid0(VALU_DEP_2) | instskip(SKIP_1) | instid1(SALU_CYCLE_1)
	v_cmp_gt_i64_e32 vcc_lo, s[16:17], v[8:9]
	s_and_b32 s0, s0, vcc_lo
	s_and_saveexec_b32 s36, s0
	s_cbranch_execz .LBB5_16
; %bb.3:                                ;   in Loop: Header=BB5_2 Depth=1
	v_dual_mov_b32 v10, v7 :: v_dual_ashrrev_i32 v11, 31, v7
                                        ; implicit-def: $vgpr14_vgpr15
	s_mov_b32 s0, exec_lo
	s_delay_alu instid0(VALU_DEP_1) | instskip(NEXT) | instid1(VALU_DEP_1)
	v_or_b32_e32 v3, s15, v11
	v_cmpx_ne_u64_e32 0, v[2:3]
	s_xor_b32 s27, exec_lo, s0
	s_cbranch_execz .LBB5_5
; %bb.4:                                ;   in Loop: Header=BB5_2 Depth=1
	s_mov_b32 s25, s24
	v_dual_mov_b32 v19, v2 :: v_dual_ashrrev_i32 v12, 31, v11
	s_add_nc_u64 s[28:29], s[14:15], s[24:25]
	v_mov_b32_e32 v27, v2
	s_xor_b64 s[28:29], s[28:29], s[24:25]
	s_delay_alu instid0(VALU_DEP_2) | instskip(SKIP_3) | instid1(VALU_DEP_1)
	v_mov_b32_e32 v13, v12
	s_cvt_f32_u32 s0, s28
	s_cvt_f32_u32 s2, s29
	s_sub_nc_u64 s[38:39], 0, s[28:29]
	v_add_nc_u64_e32 v[14:15], v[10:11], v[12:13]
	s_delay_alu instid0(SALU_CYCLE_1) | instskip(SKIP_1) | instid1(SALU_CYCLE_2)
	s_fmamk_f32 s0, s2, 0x4f800000, s0
	v_mov_b32_e32 v23, v2
	v_s_rcp_f32 s0, s0
	s_delay_alu instid0(VALU_DEP_2) | instskip(NEXT) | instid1(VALU_DEP_3)
	v_xor_b32_e32 v18, v14, v12
	v_xor_b32_e32 v22, v15, v12
	v_xor_b32_e32 v12, s24, v12
	s_delay_alu instid0(TRANS32_DEP_1) | instskip(NEXT) | instid1(SALU_CYCLE_3)
	s_mul_f32 s0, s0, 0x5f7ffffc
	s_mul_f32 s2, s0, 0x2f800000
	s_delay_alu instid0(SALU_CYCLE_3) | instskip(NEXT) | instid1(SALU_CYCLE_3)
	s_trunc_f32 s2, s2
	s_fmamk_f32 s0, s2, 0xcf800000, s0
	s_cvt_u32_f32 s31, s2
	s_delay_alu instid0(SALU_CYCLE_2) | instskip(NEXT) | instid1(SALU_CYCLE_3)
	s_cvt_u32_f32 s30, s0
	s_mul_u64 s[40:41], s[38:39], s[30:31]
	s_delay_alu instid0(SALU_CYCLE_1)
	s_mul_hi_u32 s43, s30, s41
	s_mul_i32 s42, s30, s41
	s_mul_hi_u32 s2, s30, s40
	s_mul_i32 s25, s31, s40
	s_add_nc_u64 s[42:43], s[2:3], s[42:43]
	s_mul_hi_u32 s0, s31, s40
	s_mul_hi_u32 s37, s31, s41
	s_add_co_u32 s2, s42, s25
	s_add_co_ci_u32 s2, s43, s0
	s_mul_i32 s40, s31, s41
	s_add_co_ci_u32 s41, s37, 0
	s_delay_alu instid0(SALU_CYCLE_1) | instskip(NEXT) | instid1(SALU_CYCLE_1)
	s_add_nc_u64 s[40:41], s[2:3], s[40:41]
	s_add_co_u32 s30, s30, s40
	s_cselect_b32 s0, -1, 0
	s_delay_alu instid0(SALU_CYCLE_1) | instskip(SKIP_1) | instid1(SALU_CYCLE_1)
	s_cmp_lg_u32 s0, 0
	s_add_co_ci_u32 s31, s31, s41
	s_mul_u64 s[38:39], s[38:39], s[30:31]
	s_delay_alu instid0(SALU_CYCLE_1)
	s_mul_hi_u32 s41, s30, s39
	s_mul_i32 s40, s30, s39
	s_mul_hi_u32 s2, s30, s38
	s_mul_i32 s25, s31, s38
	s_add_nc_u64 s[40:41], s[2:3], s[40:41]
	s_mul_hi_u32 s0, s31, s38
	s_mul_hi_u32 s37, s31, s39
	s_add_co_u32 s2, s40, s25
	s_add_co_ci_u32 s2, s41, s0
	s_mul_i32 s38, s31, s39
	s_add_co_ci_u32 s39, s37, 0
	s_delay_alu instid0(SALU_CYCLE_1) | instskip(NEXT) | instid1(SALU_CYCLE_1)
	s_add_nc_u64 s[38:39], s[2:3], s[38:39]
	s_add_co_u32 s0, s30, s38
	s_cselect_b32 s2, -1, 0
	v_mul_hi_u32 v26, v18, s0
	s_cmp_lg_u32 s2, 0
	s_add_co_ci_u32 s2, s31, s39
	s_and_b64 s[30:31], s[0:1], s[22:23]
	v_mul_u64_e32 v[20:21], s[2:3], v[18:19]
	v_mul_u64_e32 v[14:15], s[30:31], v[22:23]
	;; [unrolled: 1-line block ×3, first 2 shown]
	s_delay_alu instid0(VALU_DEP_3) | instskip(NEXT) | instid1(VALU_DEP_1)
	v_add_nc_u64_e32 v[20:21], v[26:27], v[20:21]
	v_add_co_u32 v3, vcc_lo, v20, v14
	s_delay_alu instid0(VALU_DEP_2) | instskip(NEXT) | instid1(VALU_DEP_4)
	v_add_co_ci_u32_e32 v26, vcc_lo, v21, v15, vcc_lo
	v_add_co_ci_u32_e32 v25, vcc_lo, 0, v25, vcc_lo
	s_delay_alu instid0(VALU_DEP_1) | instskip(NEXT) | instid1(VALU_DEP_1)
	v_add_nc_u64_e32 v[14:15], v[26:27], v[24:25]
	v_mul_u64_e32 v[20:21], s[28:29], v[14:15]
	s_delay_alu instid0(VALU_DEP_1) | instskip(NEXT) | instid1(VALU_DEP_2)
	v_sub_nc_u32_e32 v3, v22, v21
	v_sub_co_u32 v13, vcc_lo, v18, v20
	s_delay_alu instid0(VALU_DEP_1) | instskip(NEXT) | instid1(VALU_DEP_3)
	v_sub_co_ci_u32_e64 v22, null, v22, v21, vcc_lo
	v_subrev_co_ci_u32_e64 v3, null, s29, v3, vcc_lo
	s_delay_alu instid0(VALU_DEP_3) | instskip(SKIP_1) | instid1(VALU_DEP_3)
	v_sub_co_u32 v17, s0, v13, s28
	v_add_nc_u64_e32 v[20:21], 1, v[14:15]
	v_subrev_co_ci_u32_e64 v3, null, 0, v3, s0
	s_delay_alu instid0(VALU_DEP_3) | instskip(SKIP_1) | instid1(VALU_DEP_3)
	v_cmp_le_u32_e32 vcc_lo, s28, v17
	v_cndmask_b32_e64 v17, 0, -1, vcc_lo
	v_cmp_le_u32_e32 vcc_lo, s29, v3
	v_cndmask_b32_e64 v18, 0, -1, vcc_lo
	v_cmp_le_u32_e32 vcc_lo, s28, v13
	v_cndmask_b32_e64 v13, 0, -1, vcc_lo
	v_cmp_le_u32_e32 vcc_lo, s29, v22
	v_cndmask_b32_e64 v23, 0, -1, vcc_lo
	v_cmp_eq_u32_e32 vcc_lo, s29, v3
	v_cndmask_b32_e32 v3, v18, v17, vcc_lo
	v_cmp_eq_u32_e32 vcc_lo, s29, v22
	v_add_nc_u64_e32 v[18:19], 2, v[14:15]
	v_cndmask_b32_e32 v13, v23, v13, vcc_lo
	s_delay_alu instid0(VALU_DEP_4) | instskip(NEXT) | instid1(VALU_DEP_2)
	v_cmp_ne_u32_e32 vcc_lo, 0, v3
	v_cmp_ne_u32_e64 s0, 0, v13
	s_delay_alu instid0(VALU_DEP_4) | instskip(NEXT) | instid1(VALU_DEP_1)
	v_dual_cndmask_b32 v13, v20, v18, vcc_lo :: v_dual_cndmask_b32 v3, v21, v19, vcc_lo
	v_dual_cndmask_b32 v14, v14, v13, s0 :: v_dual_cndmask_b32 v3, v15, v3, s0
	s_delay_alu instid0(VALU_DEP_1) | instskip(NEXT) | instid1(VALU_DEP_2)
	v_dual_mov_b32 v13, v12 :: v_dual_bitop2_b32 v14, v14, v12 bitop3:0x14
	v_xor_b32_e32 v15, v3, v12
	s_delay_alu instid0(VALU_DEP_1)
	v_sub_nc_u64_e32 v[14:15], v[14:15], v[12:13]
.LBB5_5:                                ;   in Loop: Header=BB5_2 Depth=1
	s_and_not1_saveexec_b32 s0, s27
	s_cbranch_execz .LBB5_7
; %bb.6:                                ;   in Loop: Header=BB5_2 Depth=1
	v_mul_hi_u32 v3, v7, v16
	v_mov_b32_e32 v15, v2
	s_delay_alu instid0(VALU_DEP_2) | instskip(NEXT) | instid1(VALU_DEP_1)
	v_mul_lo_u32 v12, v3, s14
	v_dual_add_nc_u32 v13, 1, v3 :: v_dual_sub_nc_u32 v12, v7, v12
	s_delay_alu instid0(VALU_DEP_1) | instskip(SKIP_1) | instid1(VALU_DEP_2)
	v_subrev_nc_u32_e32 v14, s14, v12
	v_cmp_le_u32_e32 vcc_lo, s14, v12
	v_dual_cndmask_b32 v12, v12, v14 :: v_dual_cndmask_b32 v3, v3, v13
	s_delay_alu instid0(VALU_DEP_1) | instskip(NEXT) | instid1(VALU_DEP_2)
	v_cmp_le_u32_e32 vcc_lo, s14, v12
	v_add_nc_u32_e32 v13, 1, v3
	s_delay_alu instid0(VALU_DEP_1)
	v_cndmask_b32_e32 v14, v3, v13, vcc_lo
.LBB5_7:                                ;   in Loop: Header=BB5_2 Depth=1
	s_or_b32 exec_lo, exec_lo, s0
	s_delay_alu instid0(VALU_DEP_1) | instskip(SKIP_1) | instid1(VALU_DEP_1)
	v_or_b32_e32 v3, s13, v15
                                        ; implicit-def: $vgpr12_vgpr13
	s_mov_b32 s0, exec_lo
	v_cmpx_ne_u64_e32 0, v[2:3]
	s_xor_b32 s25, exec_lo, s0
	s_cbranch_execz .LBB5_9
; %bb.8:                                ;   in Loop: Header=BB5_2 Depth=1
	s_mov_b32 s27, s26
	v_dual_mov_b32 v19, v2 :: v_dual_ashrrev_i32 v12, 31, v15
	s_add_nc_u64 s[28:29], s[12:13], s[26:27]
	v_mov_b32_e32 v27, v2
	s_xor_b64 s[28:29], s[28:29], s[26:27]
	s_delay_alu instid0(VALU_DEP_2) | instskip(SKIP_3) | instid1(VALU_DEP_1)
	v_mov_b32_e32 v13, v12
	s_cvt_f32_u32 s0, s28
	s_cvt_f32_u32 s2, s29
	s_sub_nc_u64 s[38:39], 0, s[28:29]
	v_add_nc_u64_e32 v[14:15], v[14:15], v[12:13]
	s_delay_alu instid0(SALU_CYCLE_1) | instskip(SKIP_1) | instid1(SALU_CYCLE_2)
	s_fmamk_f32 s0, s2, 0x4f800000, s0
	v_mov_b32_e32 v23, v2
	v_s_rcp_f32 s0, s0
	s_delay_alu instid0(VALU_DEP_2) | instskip(NEXT) | instid1(VALU_DEP_3)
	v_xor_b32_e32 v18, v14, v12
	v_xor_b32_e32 v22, v15, v12
	;; [unrolled: 1-line block ×3, first 2 shown]
	s_delay_alu instid0(TRANS32_DEP_1) | instskip(NEXT) | instid1(SALU_CYCLE_3)
	s_mul_f32 s0, s0, 0x5f7ffffc
	s_mul_f32 s2, s0, 0x2f800000
	s_delay_alu instid0(SALU_CYCLE_3) | instskip(NEXT) | instid1(SALU_CYCLE_3)
	s_trunc_f32 s2, s2
	s_fmamk_f32 s0, s2, 0xcf800000, s0
	s_cvt_u32_f32 s31, s2
	s_delay_alu instid0(SALU_CYCLE_2) | instskip(NEXT) | instid1(SALU_CYCLE_3)
	s_cvt_u32_f32 s30, s0
	s_mul_u64 s[40:41], s[38:39], s[30:31]
	s_delay_alu instid0(SALU_CYCLE_1)
	s_mul_hi_u32 s43, s30, s41
	s_mul_i32 s42, s30, s41
	s_mul_hi_u32 s2, s30, s40
	s_mul_i32 s27, s31, s40
	s_add_nc_u64 s[42:43], s[2:3], s[42:43]
	s_mul_hi_u32 s0, s31, s40
	s_mul_hi_u32 s37, s31, s41
	s_add_co_u32 s2, s42, s27
	s_add_co_ci_u32 s2, s43, s0
	s_mul_i32 s40, s31, s41
	s_add_co_ci_u32 s41, s37, 0
	s_delay_alu instid0(SALU_CYCLE_1) | instskip(NEXT) | instid1(SALU_CYCLE_1)
	s_add_nc_u64 s[40:41], s[2:3], s[40:41]
	s_add_co_u32 s30, s30, s40
	s_cselect_b32 s0, -1, 0
	s_delay_alu instid0(SALU_CYCLE_1) | instskip(SKIP_1) | instid1(SALU_CYCLE_1)
	s_cmp_lg_u32 s0, 0
	s_add_co_ci_u32 s31, s31, s41
	s_mul_u64 s[38:39], s[38:39], s[30:31]
	s_delay_alu instid0(SALU_CYCLE_1)
	s_mul_hi_u32 s41, s30, s39
	s_mul_i32 s40, s30, s39
	s_mul_hi_u32 s2, s30, s38
	s_mul_i32 s27, s31, s38
	s_add_nc_u64 s[40:41], s[2:3], s[40:41]
	s_mul_hi_u32 s0, s31, s38
	s_mul_hi_u32 s37, s31, s39
	s_add_co_u32 s2, s40, s27
	s_add_co_ci_u32 s2, s41, s0
	s_mul_i32 s38, s31, s39
	s_add_co_ci_u32 s39, s37, 0
	s_delay_alu instid0(SALU_CYCLE_1) | instskip(NEXT) | instid1(SALU_CYCLE_1)
	s_add_nc_u64 s[38:39], s[2:3], s[38:39]
	s_add_co_u32 s0, s30, s38
	s_cselect_b32 s2, -1, 0
	v_mul_hi_u32 v26, v18, s0
	s_cmp_lg_u32 s2, 0
	s_add_co_ci_u32 s2, s31, s39
	s_and_b64 s[30:31], s[0:1], s[22:23]
	v_mul_u64_e32 v[20:21], s[2:3], v[18:19]
	v_mul_u64_e32 v[14:15], s[30:31], v[22:23]
	;; [unrolled: 1-line block ×3, first 2 shown]
	s_delay_alu instid0(VALU_DEP_3) | instskip(NEXT) | instid1(VALU_DEP_1)
	v_add_nc_u64_e32 v[20:21], v[26:27], v[20:21]
	v_add_co_u32 v3, vcc_lo, v20, v14
	s_delay_alu instid0(VALU_DEP_2) | instskip(NEXT) | instid1(VALU_DEP_4)
	v_add_co_ci_u32_e32 v26, vcc_lo, v21, v15, vcc_lo
	v_add_co_ci_u32_e32 v25, vcc_lo, 0, v25, vcc_lo
	s_delay_alu instid0(VALU_DEP_1) | instskip(NEXT) | instid1(VALU_DEP_1)
	v_add_nc_u64_e32 v[14:15], v[26:27], v[24:25]
	v_mul_u64_e32 v[20:21], s[28:29], v[14:15]
	s_delay_alu instid0(VALU_DEP_1) | instskip(NEXT) | instid1(VALU_DEP_2)
	v_sub_nc_u32_e32 v3, v22, v21
	v_sub_co_u32 v13, vcc_lo, v18, v20
	s_delay_alu instid0(VALU_DEP_1) | instskip(NEXT) | instid1(VALU_DEP_3)
	v_sub_co_ci_u32_e64 v22, null, v22, v21, vcc_lo
	v_subrev_co_ci_u32_e64 v3, null, s29, v3, vcc_lo
	s_delay_alu instid0(VALU_DEP_3) | instskip(SKIP_1) | instid1(VALU_DEP_3)
	v_sub_co_u32 v17, s0, v13, s28
	v_add_nc_u64_e32 v[20:21], 1, v[14:15]
	v_subrev_co_ci_u32_e64 v3, null, 0, v3, s0
	s_delay_alu instid0(VALU_DEP_3) | instskip(SKIP_1) | instid1(VALU_DEP_3)
	v_cmp_le_u32_e32 vcc_lo, s28, v17
	v_cndmask_b32_e64 v17, 0, -1, vcc_lo
	v_cmp_le_u32_e32 vcc_lo, s29, v3
	v_cndmask_b32_e64 v18, 0, -1, vcc_lo
	;; [unrolled: 2-line block ×4, first 2 shown]
	v_cmp_eq_u32_e32 vcc_lo, s29, v3
	v_cndmask_b32_e32 v3, v18, v17, vcc_lo
	v_cmp_eq_u32_e32 vcc_lo, s29, v22
	v_add_nc_u64_e32 v[18:19], 2, v[14:15]
	v_cndmask_b32_e32 v13, v23, v13, vcc_lo
	s_delay_alu instid0(VALU_DEP_4) | instskip(NEXT) | instid1(VALU_DEP_2)
	v_cmp_ne_u32_e32 vcc_lo, 0, v3
	v_cmp_ne_u32_e64 s0, 0, v13
	s_delay_alu instid0(VALU_DEP_4) | instskip(NEXT) | instid1(VALU_DEP_1)
	v_dual_cndmask_b32 v13, v20, v18, vcc_lo :: v_dual_cndmask_b32 v3, v21, v19, vcc_lo
	v_dual_cndmask_b32 v14, v14, v13, s0 :: v_dual_cndmask_b32 v3, v15, v3, s0
	s_delay_alu instid0(VALU_DEP_1) | instskip(NEXT) | instid1(VALU_DEP_2)
	v_dual_mov_b32 v13, v12 :: v_dual_bitop2_b32 v14, v14, v12 bitop3:0x14
	v_xor_b32_e32 v15, v3, v12
	s_delay_alu instid0(VALU_DEP_1)
	v_sub_nc_u64_e32 v[12:13], v[14:15], v[12:13]
                                        ; implicit-def: $vgpr14_vgpr15
.LBB5_9:                                ;   in Loop: Header=BB5_2 Depth=1
	s_and_not1_saveexec_b32 s0, s25
	s_cbranch_execz .LBB5_11
; %bb.10:                               ;   in Loop: Header=BB5_2 Depth=1
	v_cvt_f32_u32_e32 v3, s12
	s_sub_co_i32 s2, 0, s12
	s_delay_alu instid0(VALU_DEP_1) | instskip(SKIP_1) | instid1(TRANS32_DEP_1)
	v_rcp_iflag_f32_e32 v3, v3
	v_nop
	v_mul_f32_e32 v3, 0x4f7ffffe, v3
	s_delay_alu instid0(VALU_DEP_1) | instskip(NEXT) | instid1(VALU_DEP_1)
	v_cvt_u32_f32_e32 v3, v3
	v_mul_lo_u32 v12, s2, v3
	s_delay_alu instid0(VALU_DEP_1) | instskip(NEXT) | instid1(VALU_DEP_1)
	v_mul_hi_u32 v12, v3, v12
	v_add_nc_u32_e32 v3, v3, v12
	s_delay_alu instid0(VALU_DEP_1) | instskip(NEXT) | instid1(VALU_DEP_1)
	v_mul_hi_u32 v3, v14, v3
	v_mul_lo_u32 v12, v3, s12
	s_delay_alu instid0(VALU_DEP_1) | instskip(NEXT) | instid1(VALU_DEP_1)
	v_dual_add_nc_u32 v13, 1, v3 :: v_dual_sub_nc_u32 v12, v14, v12
	v_subrev_nc_u32_e32 v14, s12, v12
	v_cmp_le_u32_e32 vcc_lo, s12, v12
	s_delay_alu instid0(VALU_DEP_2) | instskip(NEXT) | instid1(VALU_DEP_1)
	v_dual_cndmask_b32 v12, v12, v14 :: v_dual_cndmask_b32 v3, v3, v13
	v_cmp_le_u32_e32 vcc_lo, s12, v12
	s_delay_alu instid0(VALU_DEP_2) | instskip(NEXT) | instid1(VALU_DEP_1)
	v_add_nc_u32_e32 v13, 1, v3
	v_dual_cndmask_b32 v12, v3, v13 :: v_dual_mov_b32 v13, v2
.LBB5_11:                               ;   in Loop: Header=BB5_2 Depth=1
	s_or_b32 exec_lo, exec_lo, s0
	s_delay_alu instid0(VALU_DEP_1) | instskip(SKIP_1) | instid1(VALU_DEP_1)
	v_or_b32_e32 v3, s11, v13
                                        ; implicit-def: $vgpr14_vgpr15
	s_mov_b32 s0, exec_lo
	v_cmpx_ne_u64_e32 0, v[2:3]
	s_xor_b32 s25, exec_lo, s0
	s_cbranch_execz .LBB5_13
; %bb.12:                               ;   in Loop: Header=BB5_2 Depth=1
	s_ashr_i32 s28, s11, 31
	v_dual_mov_b32 v21, v2 :: v_dual_ashrrev_i32 v14, 31, v13
	s_mov_b32 s29, s28
	v_mov_b32_e32 v25, v2
	s_add_nc_u64 s[30:31], s[10:11], s[28:29]
	s_delay_alu instid0(VALU_DEP_2)
	v_mov_b32_e32 v15, v14
	s_xor_b64 s[30:31], s[30:31], s[28:29]
	v_mov_b32_e32 v29, v2
	s_cvt_f32_u32 s0, s30
	s_cvt_f32_u32 s2, s31
	s_sub_nc_u64 s[40:41], 0, s[30:31]
	v_add_nc_u64_e32 v[18:19], v[12:13], v[14:15]
	s_delay_alu instid0(SALU_CYCLE_1) | instskip(NEXT) | instid1(SALU_CYCLE_3)
	s_fmamk_f32 s0, s2, 0x4f800000, s0
	v_s_rcp_f32 s0, s0
	s_delay_alu instid0(VALU_DEP_1) | instskip(NEXT) | instid1(VALU_DEP_2)
	v_xor_b32_e32 v24, v19, v14
	v_xor_b32_e32 v20, v18, v14
	;; [unrolled: 1-line block ×3, first 2 shown]
	s_delay_alu instid0(TRANS32_DEP_1) | instskip(NEXT) | instid1(SALU_CYCLE_3)
	s_mul_f32 s0, s0, 0x5f7ffffc
	s_mul_f32 s2, s0, 0x2f800000
	s_delay_alu instid0(SALU_CYCLE_3) | instskip(NEXT) | instid1(SALU_CYCLE_3)
	s_trunc_f32 s2, s2
	s_fmamk_f32 s0, s2, 0xcf800000, s0
	s_cvt_u32_f32 s39, s2
	s_delay_alu instid0(SALU_CYCLE_2) | instskip(NEXT) | instid1(SALU_CYCLE_3)
	s_cvt_u32_f32 s38, s0
	s_mul_u64 s[42:43], s[40:41], s[38:39]
	s_delay_alu instid0(SALU_CYCLE_1)
	s_mul_hi_u32 s45, s38, s43
	s_mul_i32 s44, s38, s43
	s_mul_hi_u32 s2, s38, s42
	s_mul_i32 s27, s39, s42
	s_add_nc_u64 s[44:45], s[2:3], s[44:45]
	s_mul_hi_u32 s0, s39, s42
	s_mul_hi_u32 s29, s39, s43
	s_add_co_u32 s2, s44, s27
	s_add_co_ci_u32 s2, s45, s0
	s_mul_i32 s42, s39, s43
	s_add_co_ci_u32 s43, s29, 0
	s_delay_alu instid0(SALU_CYCLE_1) | instskip(NEXT) | instid1(SALU_CYCLE_1)
	s_add_nc_u64 s[42:43], s[2:3], s[42:43]
	s_add_co_u32 s38, s38, s42
	s_cselect_b32 s0, -1, 0
	s_delay_alu instid0(SALU_CYCLE_1) | instskip(SKIP_1) | instid1(SALU_CYCLE_1)
	s_cmp_lg_u32 s0, 0
	s_add_co_ci_u32 s39, s39, s43
	s_mul_u64 s[40:41], s[40:41], s[38:39]
	s_delay_alu instid0(SALU_CYCLE_1)
	s_mul_hi_u32 s43, s38, s41
	s_mul_i32 s42, s38, s41
	s_mul_hi_u32 s2, s38, s40
	s_mul_i32 s27, s39, s40
	s_add_nc_u64 s[42:43], s[2:3], s[42:43]
	s_mul_hi_u32 s0, s39, s40
	s_mul_hi_u32 s29, s39, s41
	s_add_co_u32 s2, s42, s27
	s_add_co_ci_u32 s2, s43, s0
	s_mul_i32 s40, s39, s41
	s_add_co_ci_u32 s41, s29, 0
	s_delay_alu instid0(SALU_CYCLE_1) | instskip(NEXT) | instid1(SALU_CYCLE_1)
	s_add_nc_u64 s[40:41], s[2:3], s[40:41]
	s_add_co_u32 s0, s38, s40
	s_cselect_b32 s2, -1, 0
	v_mul_hi_u32 v28, v20, s0
	s_cmp_lg_u32 s2, 0
	s_add_co_ci_u32 s2, s39, s41
	s_and_b64 s[38:39], s[0:1], s[22:23]
	v_mul_u64_e32 v[22:23], s[2:3], v[20:21]
	v_mul_u64_e32 v[18:19], s[38:39], v[24:25]
	;; [unrolled: 1-line block ×3, first 2 shown]
	s_delay_alu instid0(VALU_DEP_3) | instskip(NEXT) | instid1(VALU_DEP_1)
	v_add_nc_u64_e32 v[22:23], v[28:29], v[22:23]
	v_add_co_u32 v3, vcc_lo, v22, v18
	s_delay_alu instid0(VALU_DEP_2) | instskip(NEXT) | instid1(VALU_DEP_4)
	v_add_co_ci_u32_e32 v28, vcc_lo, v23, v19, vcc_lo
	v_add_co_ci_u32_e32 v27, vcc_lo, 0, v27, vcc_lo
	s_delay_alu instid0(VALU_DEP_1) | instskip(NEXT) | instid1(VALU_DEP_1)
	v_add_nc_u64_e32 v[18:19], v[28:29], v[26:27]
	v_mul_u64_e32 v[22:23], s[30:31], v[18:19]
	s_delay_alu instid0(VALU_DEP_1) | instskip(NEXT) | instid1(VALU_DEP_2)
	v_sub_nc_u32_e32 v3, v24, v23
	v_sub_co_u32 v13, vcc_lo, v20, v22
	s_delay_alu instid0(VALU_DEP_1) | instskip(NEXT) | instid1(VALU_DEP_3)
	v_sub_co_ci_u32_e64 v17, null, v24, v23, vcc_lo
	v_subrev_co_ci_u32_e64 v3, null, s31, v3, vcc_lo
	s_delay_alu instid0(VALU_DEP_3) | instskip(SKIP_1) | instid1(VALU_DEP_3)
	v_sub_co_u32 v15, s0, v13, s30
	v_add_nc_u64_e32 v[22:23], 1, v[18:19]
	v_subrev_co_ci_u32_e64 v3, null, 0, v3, s0
	s_delay_alu instid0(VALU_DEP_3) | instskip(SKIP_1) | instid1(VALU_DEP_3)
	v_cmp_le_u32_e32 vcc_lo, s30, v15
	v_cndmask_b32_e64 v15, 0, -1, vcc_lo
	v_cmp_le_u32_e32 vcc_lo, s31, v3
	v_cndmask_b32_e64 v20, 0, -1, vcc_lo
	;; [unrolled: 2-line block ×4, first 2 shown]
	v_cmp_eq_u32_e32 vcc_lo, s31, v3
	v_cndmask_b32_e32 v3, v20, v15, vcc_lo
	v_cmp_eq_u32_e32 vcc_lo, s31, v17
	v_add_nc_u64_e32 v[20:21], 2, v[18:19]
	v_dual_mov_b32 v15, v14 :: v_dual_cndmask_b32 v13, v24, v13, vcc_lo
	s_delay_alu instid0(VALU_DEP_4) | instskip(NEXT) | instid1(VALU_DEP_2)
	v_cmp_ne_u32_e32 vcc_lo, 0, v3
	v_cmp_ne_u32_e64 s0, 0, v13
	s_delay_alu instid0(VALU_DEP_4) | instskip(NEXT) | instid1(VALU_DEP_1)
	v_dual_cndmask_b32 v3, v23, v21, vcc_lo :: v_dual_cndmask_b32 v13, v22, v20, vcc_lo
	v_dual_cndmask_b32 v3, v19, v3, s0 :: v_dual_cndmask_b32 v13, v18, v13, s0
	s_delay_alu instid0(VALU_DEP_1) | instskip(NEXT) | instid1(VALU_DEP_2)
	v_xor_b32_e32 v19, v3, v14
	v_xor_b32_e32 v18, v13, v14
	s_delay_alu instid0(VALU_DEP_1)
	v_sub_nc_u64_e32 v[14:15], v[18:19], v[14:15]
.LBB5_13:                               ;   in Loop: Header=BB5_2 Depth=1
	s_and_not1_saveexec_b32 s0, s25
	s_cbranch_execz .LBB5_15
; %bb.14:                               ;   in Loop: Header=BB5_2 Depth=1
	v_cvt_f32_u32_e32 v3, s10
	s_sub_co_i32 s2, 0, s10
	s_delay_alu instid0(VALU_DEP_1) | instskip(SKIP_1) | instid1(TRANS32_DEP_1)
	v_rcp_iflag_f32_e32 v3, v3
	v_nop
	v_mul_f32_e32 v3, 0x4f7ffffe, v3
	s_delay_alu instid0(VALU_DEP_1) | instskip(NEXT) | instid1(VALU_DEP_1)
	v_cvt_u32_f32_e32 v3, v3
	v_mul_lo_u32 v13, s2, v3
	s_delay_alu instid0(VALU_DEP_1) | instskip(NEXT) | instid1(VALU_DEP_1)
	v_mul_hi_u32 v13, v3, v13
	v_add_nc_u32_e32 v3, v3, v13
	s_delay_alu instid0(VALU_DEP_1) | instskip(NEXT) | instid1(VALU_DEP_1)
	v_mul_hi_u32 v3, v12, v3
	v_mul_lo_u32 v13, v3, s10
	s_delay_alu instid0(VALU_DEP_1) | instskip(NEXT) | instid1(VALU_DEP_1)
	v_dual_add_nc_u32 v14, 1, v3 :: v_dual_sub_nc_u32 v13, v12, v13
	v_subrev_nc_u32_e32 v15, s10, v13
	v_cmp_le_u32_e32 vcc_lo, s10, v13
	s_delay_alu instid0(VALU_DEP_2) | instskip(NEXT) | instid1(VALU_DEP_1)
	v_dual_cndmask_b32 v13, v13, v15, vcc_lo :: v_dual_cndmask_b32 v3, v3, v14, vcc_lo
	v_cmp_le_u32_e32 vcc_lo, s10, v13
	s_delay_alu instid0(VALU_DEP_2) | instskip(NEXT) | instid1(VALU_DEP_1)
	v_add_nc_u32_e32 v14, 1, v3
	v_cndmask_b32_e32 v14, v3, v14, vcc_lo
.LBB5_15:                               ;   in Loop: Header=BB5_2 Depth=1
	s_or_b32 exec_lo, exec_lo, s0
	v_lshl_add_u64 v[10:11], v[10:11], 3, s[6:7]
	s_delay_alu instid0(VALU_DEP_2)
	v_mul_lo_u32 v3, v14, s10
	v_add_nc_u64_e32 v[0:1], s[18:19], v[0:1]
	v_add_nc_u64_e32 v[6:7], s[20:21], v[6:7]
	s_and_not1_b32 s0, s35, exec_lo
	global_load_b64 v[10:11], v[10:11], off
	s_and_not1_b32 s34, s34, exec_lo
	v_cmp_le_i64_e32 vcc_lo, s[4:5], v[0:1]
	v_dual_sub_nc_u32 v12, v12, v3 :: v_dual_ashrrev_i32 v3, 31, v14
	s_and_b32 s2, vcc_lo, exec_lo
	s_delay_alu instid0(VALU_DEP_1) | instskip(SKIP_1) | instid1(VALU_DEP_1)
	v_ashrrev_i32_e32 v13, 31, v12
	s_or_b32 s35, s0, s2
	v_mad_nc_u64_u32 v[12:13], v14, s10, v[12:13]
	s_delay_alu instid0(VALU_DEP_1) | instskip(NEXT) | instid1(VALU_DEP_1)
	v_mad_u32 v3, v3, s10, v13
	v_mad_u32 v13, v14, s11, v3
	s_delay_alu instid0(VALU_DEP_1) | instskip(NEXT) | instid1(VALU_DEP_1)
	v_mul_u64_e32 v[12:13], s[16:17], v[12:13]
	v_lshl_add_u64 v[4:5], v[12:13], 3, v[4:5]
	s_delay_alu instid0(VALU_DEP_1)
	v_lshl_add_u64 v[8:9], v[8:9], 3, v[4:5]
	s_wait_loadcnt 0x0
	global_store_b64 v[8:9], v[10:11], off
.LBB5_16:                               ;   in Loop: Header=BB5_2 Depth=1
	s_wait_xcnt 0x0
	s_or_b32 exec_lo, exec_lo, s36
	s_delay_alu instid0(SALU_CYCLE_1) | instskip(NEXT) | instid1(SALU_CYCLE_1)
	s_and_b32 s0, exec_lo, s35
	s_or_b32 s1, s0, s1
	s_and_not1_b32 s0, s33, exec_lo
	s_and_b32 s2, s34, exec_lo
	s_delay_alu instid0(SALU_CYCLE_1)
	s_or_b32 s33, s0, s2
	s_and_not1_b32 exec_lo, exec_lo, s1
	s_cbranch_execnz .LBB5_2
; %bb.17:
	s_or_b32 exec_lo, exec_lo, s1
	s_and_saveexec_b32 s0, s33
	s_delay_alu instid0(SALU_CYCLE_1)
	s_xor_b32 s0, exec_lo, s0
	s_cbranch_execnz .LBB5_19
.LBB5_18:
	s_endpgm
.LBB5_19:
	s_trap 2
	; divergent unreachable
	s_endpgm
	.section	.rodata,"a",@progbits
	.p2align	6, 0x0
	.amdhsa_kernel _ZN2at6native30max_unpooling2d_forward_kernelIdEEvlPKT_PKllllllPS2_
		.amdhsa_group_segment_fixed_size 0
		.amdhsa_private_segment_fixed_size 0
		.amdhsa_kernarg_size 328
		.amdhsa_user_sgpr_count 2
		.amdhsa_user_sgpr_dispatch_ptr 0
		.amdhsa_user_sgpr_queue_ptr 0
		.amdhsa_user_sgpr_kernarg_segment_ptr 1
		.amdhsa_user_sgpr_dispatch_id 0
		.amdhsa_user_sgpr_kernarg_preload_length 0
		.amdhsa_user_sgpr_kernarg_preload_offset 0
		.amdhsa_user_sgpr_private_segment_size 0
		.amdhsa_wavefront_size32 1
		.amdhsa_uses_dynamic_stack 0
		.amdhsa_enable_private_segment 0
		.amdhsa_system_sgpr_workgroup_id_x 1
		.amdhsa_system_sgpr_workgroup_id_y 0
		.amdhsa_system_sgpr_workgroup_id_z 0
		.amdhsa_system_sgpr_workgroup_info 0
		.amdhsa_system_vgpr_workitem_id 0
		.amdhsa_next_free_vgpr 30
		.amdhsa_next_free_sgpr 46
		.amdhsa_named_barrier_count 0
		.amdhsa_reserve_vcc 1
		.amdhsa_float_round_mode_32 0
		.amdhsa_float_round_mode_16_64 0
		.amdhsa_float_denorm_mode_32 3
		.amdhsa_float_denorm_mode_16_64 3
		.amdhsa_fp16_overflow 0
		.amdhsa_memory_ordered 1
		.amdhsa_forward_progress 1
		.amdhsa_inst_pref_size 22
		.amdhsa_round_robin_scheduling 0
		.amdhsa_exception_fp_ieee_invalid_op 0
		.amdhsa_exception_fp_denorm_src 0
		.amdhsa_exception_fp_ieee_div_zero 0
		.amdhsa_exception_fp_ieee_overflow 0
		.amdhsa_exception_fp_ieee_underflow 0
		.amdhsa_exception_fp_ieee_inexact 0
		.amdhsa_exception_int_div_zero 0
	.end_amdhsa_kernel
	.section	.text._ZN2at6native30max_unpooling2d_forward_kernelIdEEvlPKT_PKllllllPS2_,"axG",@progbits,_ZN2at6native30max_unpooling2d_forward_kernelIdEEvlPKT_PKllllllPS2_,comdat
.Lfunc_end5:
	.size	_ZN2at6native30max_unpooling2d_forward_kernelIdEEvlPKT_PKllllllPS2_, .Lfunc_end5-_ZN2at6native30max_unpooling2d_forward_kernelIdEEvlPKT_PKllllllPS2_
                                        ; -- End function
	.set _ZN2at6native30max_unpooling2d_forward_kernelIdEEvlPKT_PKllllllPS2_.num_vgpr, 30
	.set _ZN2at6native30max_unpooling2d_forward_kernelIdEEvlPKT_PKllllllPS2_.num_agpr, 0
	.set _ZN2at6native30max_unpooling2d_forward_kernelIdEEvlPKT_PKllllllPS2_.numbered_sgpr, 46
	.set _ZN2at6native30max_unpooling2d_forward_kernelIdEEvlPKT_PKllllllPS2_.num_named_barrier, 0
	.set _ZN2at6native30max_unpooling2d_forward_kernelIdEEvlPKT_PKllllllPS2_.private_seg_size, 0
	.set _ZN2at6native30max_unpooling2d_forward_kernelIdEEvlPKT_PKllllllPS2_.uses_vcc, 1
	.set _ZN2at6native30max_unpooling2d_forward_kernelIdEEvlPKT_PKllllllPS2_.uses_flat_scratch, 0
	.set _ZN2at6native30max_unpooling2d_forward_kernelIdEEvlPKT_PKllllllPS2_.has_dyn_sized_stack, 0
	.set _ZN2at6native30max_unpooling2d_forward_kernelIdEEvlPKT_PKllllllPS2_.has_recursion, 0
	.set _ZN2at6native30max_unpooling2d_forward_kernelIdEEvlPKT_PKllllllPS2_.has_indirect_call, 0
	.section	.AMDGPU.csdata,"",@progbits
; Kernel info:
; codeLenInByte = 2700
; TotalNumSgprs: 48
; NumVgprs: 30
; ScratchSize: 0
; MemoryBound: 0
; FloatMode: 240
; IeeeMode: 1
; LDSByteSize: 0 bytes/workgroup (compile time only)
; SGPRBlocks: 0
; VGPRBlocks: 1
; NumSGPRsForWavesPerEU: 48
; NumVGPRsForWavesPerEU: 30
; NamedBarCnt: 0
; Occupancy: 16
; WaveLimiterHint : 1
; COMPUTE_PGM_RSRC2:SCRATCH_EN: 0
; COMPUTE_PGM_RSRC2:USER_SGPR: 2
; COMPUTE_PGM_RSRC2:TRAP_HANDLER: 0
; COMPUTE_PGM_RSRC2:TGID_X_EN: 1
; COMPUTE_PGM_RSRC2:TGID_Y_EN: 0
; COMPUTE_PGM_RSRC2:TGID_Z_EN: 0
; COMPUTE_PGM_RSRC2:TIDIG_COMP_CNT: 0
	.section	.text._ZN2at6native30max_unpooling2d_forward_kernelIfEEvlPKT_PKllllllPS2_,"axG",@progbits,_ZN2at6native30max_unpooling2d_forward_kernelIfEEvlPKT_PKllllllPS2_,comdat
	.protected	_ZN2at6native30max_unpooling2d_forward_kernelIfEEvlPKT_PKllllllPS2_ ; -- Begin function _ZN2at6native30max_unpooling2d_forward_kernelIfEEvlPKT_PKllllllPS2_
	.globl	_ZN2at6native30max_unpooling2d_forward_kernelIfEEvlPKT_PKllllllPS2_
	.p2align	8
	.type	_ZN2at6native30max_unpooling2d_forward_kernelIfEEvlPKT_PKllllllPS2_,@function
_ZN2at6native30max_unpooling2d_forward_kernelIfEEvlPKT_PKllllllPS2_: ; @_ZN2at6native30max_unpooling2d_forward_kernelIfEEvlPKT_PKllllllPS2_
; %bb.0:
	s_load_b32 s2, s[0:1], 0x54
	s_bfe_u32 s4, ttmp6, 0x4000c
	v_mov_b32_e32 v2, 0
	s_add_co_i32 s21, s4, 1
	s_load_b512 s[4:19], s[0:1], 0x0
	s_and_b32 s3, ttmp6, 15
	s_mul_i32 s21, ttmp9, s21
	s_getreg_b32 s20, hwreg(HW_REG_IB_STS2, 6, 4)
	v_mov_b32_e32 v1, v2
	s_add_co_i32 s3, s3, s21
	s_wait_kmcnt 0x0
	s_and_b32 s2, s2, 0xffff
	s_cmp_eq_u32 s20, 0
	s_mov_b32 s20, exec_lo
	s_cselect_b32 s3, ttmp9, s3
	s_delay_alu instid0(SALU_CYCLE_1) | instskip(SKIP_1) | instid1(VALU_DEP_1)
	v_mad_nc_u64_u32 v[0:1], s2, s3, v[0:1]
	s_mov_b32 s3, 0
	v_cmpx_gt_i64_e64 s[4:5], v[0:1]
	s_cbranch_execz .LBB6_18
; %bb.1:
	v_cvt_f32_u32_e32 v3, s14
	s_sub_co_i32 s22, 0, s14
	s_add_nc_u64 s[20:21], s[0:1], 0x48
	s_load_b64 s[0:1], s[0:1], 0x40
	s_mul_u64 s[16:17], s[18:19], s[16:17]
	v_rcp_iflag_f32_e32 v3, v3
	s_load_b32 s21, s[20:21], 0x0
	s_mov_b32 s19, s3
	s_wait_xcnt 0x0
	s_mov_b32 s20, s3
	s_ashr_i32 s24, s15, 31
	s_ashr_i32 s26, s13, 31
                                        ; implicit-def: $sgpr33
                                        ; implicit-def: $sgpr35
                                        ; implicit-def: $sgpr34
	v_nop
	v_mul_f32_e32 v3, 0x4f7ffffe, v3
	s_delay_alu instid0(VALU_DEP_1) | instskip(NEXT) | instid1(VALU_DEP_1)
	v_cvt_u32_f32_e32 v6, v3
	v_mul_lo_u32 v3, s22, v6
	s_wait_kmcnt 0x0
	v_mov_b64_e32 v[4:5], s[0:1]
	s_mov_b64 s[22:23], 0xffffffff
	s_mov_b32 s1, 0
	s_mul_i32 s18, s21, s2
	s_delay_alu instid0(SALU_CYCLE_1) | instskip(NEXT) | instid1(VALU_DEP_2)
	s_mov_b32 s21, s18
	v_mul_hi_u32 v7, v6, v3
	s_delay_alu instid0(VALU_DEP_1) | instskip(NEXT) | instid1(VALU_DEP_1)
	v_dual_mov_b32 v3, v0 :: v_dual_add_nc_u32 v16, v6, v7
	v_mov_b64_e32 v[6:7], v[2:3]
.LBB6_2:                                ; =>This Inner Loop Header: Depth=1
	s_delay_alu instid0(VALU_DEP_1) | instskip(SKIP_2) | instid1(VALU_DEP_1)
	v_ashrrev_i64 v[8:9], 29, v[6:7]
	s_or_b32 s34, s34, exec_lo
	s_or_b32 s35, s35, exec_lo
	v_add_nc_u64_e32 v[8:9], s[8:9], v[8:9]
	global_load_b64 v[8:9], v[8:9], off
	s_wait_loadcnt 0x0
	s_wait_xcnt 0x0
	v_ashrrev_i32_e32 v9, 31, v8
	v_cmp_lt_i32_e64 s0, -1, v8
	s_delay_alu instid0(VALU_DEP_2) | instskip(SKIP_1) | instid1(SALU_CYCLE_1)
	v_cmp_gt_i64_e32 vcc_lo, s[16:17], v[8:9]
	s_and_b32 s0, s0, vcc_lo
	s_and_saveexec_b32 s36, s0
	s_cbranch_execz .LBB6_16
; %bb.3:                                ;   in Loop: Header=BB6_2 Depth=1
	v_dual_mov_b32 v10, v7 :: v_dual_ashrrev_i32 v11, 31, v7
                                        ; implicit-def: $vgpr14_vgpr15
	s_mov_b32 s0, exec_lo
	s_delay_alu instid0(VALU_DEP_1) | instskip(NEXT) | instid1(VALU_DEP_1)
	v_or_b32_e32 v3, s15, v11
	v_cmpx_ne_u64_e32 0, v[2:3]
	s_xor_b32 s27, exec_lo, s0
	s_cbranch_execz .LBB6_5
; %bb.4:                                ;   in Loop: Header=BB6_2 Depth=1
	s_mov_b32 s25, s24
	v_dual_mov_b32 v19, v2 :: v_dual_ashrrev_i32 v12, 31, v11
	s_add_nc_u64 s[28:29], s[14:15], s[24:25]
	v_mov_b32_e32 v27, v2
	s_xor_b64 s[28:29], s[28:29], s[24:25]
	s_delay_alu instid0(VALU_DEP_2) | instskip(SKIP_3) | instid1(VALU_DEP_1)
	v_mov_b32_e32 v13, v12
	s_cvt_f32_u32 s0, s28
	s_cvt_f32_u32 s2, s29
	s_sub_nc_u64 s[38:39], 0, s[28:29]
	v_add_nc_u64_e32 v[14:15], v[10:11], v[12:13]
	s_delay_alu instid0(SALU_CYCLE_1) | instskip(SKIP_1) | instid1(SALU_CYCLE_2)
	s_fmamk_f32 s0, s2, 0x4f800000, s0
	v_mov_b32_e32 v23, v2
	v_s_rcp_f32 s0, s0
	s_delay_alu instid0(VALU_DEP_2) | instskip(NEXT) | instid1(VALU_DEP_3)
	v_xor_b32_e32 v18, v14, v12
	v_xor_b32_e32 v22, v15, v12
	;; [unrolled: 1-line block ×3, first 2 shown]
	s_delay_alu instid0(TRANS32_DEP_1) | instskip(NEXT) | instid1(SALU_CYCLE_3)
	s_mul_f32 s0, s0, 0x5f7ffffc
	s_mul_f32 s2, s0, 0x2f800000
	s_delay_alu instid0(SALU_CYCLE_3) | instskip(NEXT) | instid1(SALU_CYCLE_3)
	s_trunc_f32 s2, s2
	s_fmamk_f32 s0, s2, 0xcf800000, s0
	s_cvt_u32_f32 s31, s2
	s_delay_alu instid0(SALU_CYCLE_2) | instskip(NEXT) | instid1(SALU_CYCLE_3)
	s_cvt_u32_f32 s30, s0
	s_mul_u64 s[40:41], s[38:39], s[30:31]
	s_delay_alu instid0(SALU_CYCLE_1)
	s_mul_hi_u32 s43, s30, s41
	s_mul_i32 s42, s30, s41
	s_mul_hi_u32 s2, s30, s40
	s_mul_i32 s25, s31, s40
	s_add_nc_u64 s[42:43], s[2:3], s[42:43]
	s_mul_hi_u32 s0, s31, s40
	s_mul_hi_u32 s37, s31, s41
	s_add_co_u32 s2, s42, s25
	s_add_co_ci_u32 s2, s43, s0
	s_mul_i32 s40, s31, s41
	s_add_co_ci_u32 s41, s37, 0
	s_delay_alu instid0(SALU_CYCLE_1) | instskip(NEXT) | instid1(SALU_CYCLE_1)
	s_add_nc_u64 s[40:41], s[2:3], s[40:41]
	s_add_co_u32 s30, s30, s40
	s_cselect_b32 s0, -1, 0
	s_delay_alu instid0(SALU_CYCLE_1) | instskip(SKIP_1) | instid1(SALU_CYCLE_1)
	s_cmp_lg_u32 s0, 0
	s_add_co_ci_u32 s31, s31, s41
	s_mul_u64 s[38:39], s[38:39], s[30:31]
	s_delay_alu instid0(SALU_CYCLE_1)
	s_mul_hi_u32 s41, s30, s39
	s_mul_i32 s40, s30, s39
	s_mul_hi_u32 s2, s30, s38
	s_mul_i32 s25, s31, s38
	s_add_nc_u64 s[40:41], s[2:3], s[40:41]
	s_mul_hi_u32 s0, s31, s38
	s_mul_hi_u32 s37, s31, s39
	s_add_co_u32 s2, s40, s25
	s_add_co_ci_u32 s2, s41, s0
	s_mul_i32 s38, s31, s39
	s_add_co_ci_u32 s39, s37, 0
	s_delay_alu instid0(SALU_CYCLE_1) | instskip(NEXT) | instid1(SALU_CYCLE_1)
	s_add_nc_u64 s[38:39], s[2:3], s[38:39]
	s_add_co_u32 s0, s30, s38
	s_cselect_b32 s2, -1, 0
	v_mul_hi_u32 v26, v18, s0
	s_cmp_lg_u32 s2, 0
	s_add_co_ci_u32 s2, s31, s39
	s_and_b64 s[30:31], s[0:1], s[22:23]
	v_mul_u64_e32 v[20:21], s[2:3], v[18:19]
	v_mul_u64_e32 v[14:15], s[30:31], v[22:23]
	;; [unrolled: 1-line block ×3, first 2 shown]
	s_delay_alu instid0(VALU_DEP_3) | instskip(NEXT) | instid1(VALU_DEP_1)
	v_add_nc_u64_e32 v[20:21], v[26:27], v[20:21]
	v_add_co_u32 v3, vcc_lo, v20, v14
	s_delay_alu instid0(VALU_DEP_2) | instskip(NEXT) | instid1(VALU_DEP_4)
	v_add_co_ci_u32_e32 v26, vcc_lo, v21, v15, vcc_lo
	v_add_co_ci_u32_e32 v25, vcc_lo, 0, v25, vcc_lo
	s_delay_alu instid0(VALU_DEP_1) | instskip(NEXT) | instid1(VALU_DEP_1)
	v_add_nc_u64_e32 v[14:15], v[26:27], v[24:25]
	v_mul_u64_e32 v[20:21], s[28:29], v[14:15]
	s_delay_alu instid0(VALU_DEP_1) | instskip(NEXT) | instid1(VALU_DEP_2)
	v_sub_nc_u32_e32 v3, v22, v21
	v_sub_co_u32 v13, vcc_lo, v18, v20
	s_delay_alu instid0(VALU_DEP_1) | instskip(NEXT) | instid1(VALU_DEP_3)
	v_sub_co_ci_u32_e64 v22, null, v22, v21, vcc_lo
	v_subrev_co_ci_u32_e64 v3, null, s29, v3, vcc_lo
	s_delay_alu instid0(VALU_DEP_3) | instskip(SKIP_1) | instid1(VALU_DEP_3)
	v_sub_co_u32 v17, s0, v13, s28
	v_add_nc_u64_e32 v[20:21], 1, v[14:15]
	v_subrev_co_ci_u32_e64 v3, null, 0, v3, s0
	s_delay_alu instid0(VALU_DEP_3) | instskip(SKIP_1) | instid1(VALU_DEP_3)
	v_cmp_le_u32_e32 vcc_lo, s28, v17
	v_cndmask_b32_e64 v17, 0, -1, vcc_lo
	v_cmp_le_u32_e32 vcc_lo, s29, v3
	v_cndmask_b32_e64 v18, 0, -1, vcc_lo
	;; [unrolled: 2-line block ×4, first 2 shown]
	v_cmp_eq_u32_e32 vcc_lo, s29, v3
	v_cndmask_b32_e32 v3, v18, v17, vcc_lo
	v_cmp_eq_u32_e32 vcc_lo, s29, v22
	v_add_nc_u64_e32 v[18:19], 2, v[14:15]
	v_cndmask_b32_e32 v13, v23, v13, vcc_lo
	s_delay_alu instid0(VALU_DEP_4) | instskip(NEXT) | instid1(VALU_DEP_2)
	v_cmp_ne_u32_e32 vcc_lo, 0, v3
	v_cmp_ne_u32_e64 s0, 0, v13
	s_delay_alu instid0(VALU_DEP_4) | instskip(NEXT) | instid1(VALU_DEP_1)
	v_dual_cndmask_b32 v13, v20, v18, vcc_lo :: v_dual_cndmask_b32 v3, v21, v19, vcc_lo
	v_dual_cndmask_b32 v14, v14, v13, s0 :: v_dual_cndmask_b32 v3, v15, v3, s0
	s_delay_alu instid0(VALU_DEP_1) | instskip(NEXT) | instid1(VALU_DEP_2)
	v_dual_mov_b32 v13, v12 :: v_dual_bitop2_b32 v14, v14, v12 bitop3:0x14
	v_xor_b32_e32 v15, v3, v12
	s_delay_alu instid0(VALU_DEP_1)
	v_sub_nc_u64_e32 v[14:15], v[14:15], v[12:13]
.LBB6_5:                                ;   in Loop: Header=BB6_2 Depth=1
	s_and_not1_saveexec_b32 s0, s27
	s_cbranch_execz .LBB6_7
; %bb.6:                                ;   in Loop: Header=BB6_2 Depth=1
	v_mul_hi_u32 v3, v7, v16
	v_mov_b32_e32 v15, v2
	s_delay_alu instid0(VALU_DEP_2) | instskip(NEXT) | instid1(VALU_DEP_1)
	v_mul_lo_u32 v12, v3, s14
	v_dual_add_nc_u32 v13, 1, v3 :: v_dual_sub_nc_u32 v12, v7, v12
	s_delay_alu instid0(VALU_DEP_1) | instskip(SKIP_1) | instid1(VALU_DEP_2)
	v_subrev_nc_u32_e32 v14, s14, v12
	v_cmp_le_u32_e32 vcc_lo, s14, v12
	v_dual_cndmask_b32 v12, v12, v14 :: v_dual_cndmask_b32 v3, v3, v13
	s_delay_alu instid0(VALU_DEP_1) | instskip(NEXT) | instid1(VALU_DEP_2)
	v_cmp_le_u32_e32 vcc_lo, s14, v12
	v_add_nc_u32_e32 v13, 1, v3
	s_delay_alu instid0(VALU_DEP_1)
	v_cndmask_b32_e32 v14, v3, v13, vcc_lo
.LBB6_7:                                ;   in Loop: Header=BB6_2 Depth=1
	s_or_b32 exec_lo, exec_lo, s0
	s_delay_alu instid0(VALU_DEP_1) | instskip(SKIP_1) | instid1(VALU_DEP_1)
	v_or_b32_e32 v3, s13, v15
                                        ; implicit-def: $vgpr12_vgpr13
	s_mov_b32 s0, exec_lo
	v_cmpx_ne_u64_e32 0, v[2:3]
	s_xor_b32 s25, exec_lo, s0
	s_cbranch_execz .LBB6_9
; %bb.8:                                ;   in Loop: Header=BB6_2 Depth=1
	s_mov_b32 s27, s26
	v_dual_mov_b32 v19, v2 :: v_dual_ashrrev_i32 v12, 31, v15
	s_add_nc_u64 s[28:29], s[12:13], s[26:27]
	v_mov_b32_e32 v27, v2
	s_xor_b64 s[28:29], s[28:29], s[26:27]
	s_delay_alu instid0(VALU_DEP_2) | instskip(SKIP_3) | instid1(VALU_DEP_1)
	v_mov_b32_e32 v13, v12
	s_cvt_f32_u32 s0, s28
	s_cvt_f32_u32 s2, s29
	s_sub_nc_u64 s[38:39], 0, s[28:29]
	v_add_nc_u64_e32 v[14:15], v[14:15], v[12:13]
	s_delay_alu instid0(SALU_CYCLE_1) | instskip(SKIP_1) | instid1(SALU_CYCLE_2)
	s_fmamk_f32 s0, s2, 0x4f800000, s0
	v_mov_b32_e32 v23, v2
	v_s_rcp_f32 s0, s0
	s_delay_alu instid0(VALU_DEP_2) | instskip(NEXT) | instid1(VALU_DEP_3)
	v_xor_b32_e32 v18, v14, v12
	v_xor_b32_e32 v22, v15, v12
	;; [unrolled: 1-line block ×3, first 2 shown]
	s_delay_alu instid0(TRANS32_DEP_1) | instskip(NEXT) | instid1(SALU_CYCLE_3)
	s_mul_f32 s0, s0, 0x5f7ffffc
	s_mul_f32 s2, s0, 0x2f800000
	s_delay_alu instid0(SALU_CYCLE_3) | instskip(NEXT) | instid1(SALU_CYCLE_3)
	s_trunc_f32 s2, s2
	s_fmamk_f32 s0, s2, 0xcf800000, s0
	s_cvt_u32_f32 s31, s2
	s_delay_alu instid0(SALU_CYCLE_2) | instskip(NEXT) | instid1(SALU_CYCLE_3)
	s_cvt_u32_f32 s30, s0
	s_mul_u64 s[40:41], s[38:39], s[30:31]
	s_delay_alu instid0(SALU_CYCLE_1)
	s_mul_hi_u32 s43, s30, s41
	s_mul_i32 s42, s30, s41
	s_mul_hi_u32 s2, s30, s40
	s_mul_i32 s27, s31, s40
	s_add_nc_u64 s[42:43], s[2:3], s[42:43]
	s_mul_hi_u32 s0, s31, s40
	s_mul_hi_u32 s37, s31, s41
	s_add_co_u32 s2, s42, s27
	s_add_co_ci_u32 s2, s43, s0
	s_mul_i32 s40, s31, s41
	s_add_co_ci_u32 s41, s37, 0
	s_delay_alu instid0(SALU_CYCLE_1) | instskip(NEXT) | instid1(SALU_CYCLE_1)
	s_add_nc_u64 s[40:41], s[2:3], s[40:41]
	s_add_co_u32 s30, s30, s40
	s_cselect_b32 s0, -1, 0
	s_delay_alu instid0(SALU_CYCLE_1) | instskip(SKIP_1) | instid1(SALU_CYCLE_1)
	s_cmp_lg_u32 s0, 0
	s_add_co_ci_u32 s31, s31, s41
	s_mul_u64 s[38:39], s[38:39], s[30:31]
	s_delay_alu instid0(SALU_CYCLE_1)
	s_mul_hi_u32 s41, s30, s39
	s_mul_i32 s40, s30, s39
	s_mul_hi_u32 s2, s30, s38
	s_mul_i32 s27, s31, s38
	s_add_nc_u64 s[40:41], s[2:3], s[40:41]
	s_mul_hi_u32 s0, s31, s38
	s_mul_hi_u32 s37, s31, s39
	s_add_co_u32 s2, s40, s27
	s_add_co_ci_u32 s2, s41, s0
	s_mul_i32 s38, s31, s39
	s_add_co_ci_u32 s39, s37, 0
	s_delay_alu instid0(SALU_CYCLE_1) | instskip(NEXT) | instid1(SALU_CYCLE_1)
	s_add_nc_u64 s[38:39], s[2:3], s[38:39]
	s_add_co_u32 s0, s30, s38
	s_cselect_b32 s2, -1, 0
	v_mul_hi_u32 v26, v18, s0
	s_cmp_lg_u32 s2, 0
	s_add_co_ci_u32 s2, s31, s39
	s_and_b64 s[30:31], s[0:1], s[22:23]
	v_mul_u64_e32 v[20:21], s[2:3], v[18:19]
	v_mul_u64_e32 v[14:15], s[30:31], v[22:23]
	;; [unrolled: 1-line block ×3, first 2 shown]
	s_delay_alu instid0(VALU_DEP_3) | instskip(NEXT) | instid1(VALU_DEP_1)
	v_add_nc_u64_e32 v[20:21], v[26:27], v[20:21]
	v_add_co_u32 v3, vcc_lo, v20, v14
	s_delay_alu instid0(VALU_DEP_2) | instskip(NEXT) | instid1(VALU_DEP_4)
	v_add_co_ci_u32_e32 v26, vcc_lo, v21, v15, vcc_lo
	v_add_co_ci_u32_e32 v25, vcc_lo, 0, v25, vcc_lo
	s_delay_alu instid0(VALU_DEP_1) | instskip(NEXT) | instid1(VALU_DEP_1)
	v_add_nc_u64_e32 v[14:15], v[26:27], v[24:25]
	v_mul_u64_e32 v[20:21], s[28:29], v[14:15]
	s_delay_alu instid0(VALU_DEP_1) | instskip(NEXT) | instid1(VALU_DEP_2)
	v_sub_nc_u32_e32 v3, v22, v21
	v_sub_co_u32 v13, vcc_lo, v18, v20
	s_delay_alu instid0(VALU_DEP_1) | instskip(NEXT) | instid1(VALU_DEP_3)
	v_sub_co_ci_u32_e64 v22, null, v22, v21, vcc_lo
	v_subrev_co_ci_u32_e64 v3, null, s29, v3, vcc_lo
	s_delay_alu instid0(VALU_DEP_3) | instskip(SKIP_1) | instid1(VALU_DEP_3)
	v_sub_co_u32 v17, s0, v13, s28
	v_add_nc_u64_e32 v[20:21], 1, v[14:15]
	v_subrev_co_ci_u32_e64 v3, null, 0, v3, s0
	s_delay_alu instid0(VALU_DEP_3) | instskip(SKIP_1) | instid1(VALU_DEP_3)
	v_cmp_le_u32_e32 vcc_lo, s28, v17
	v_cndmask_b32_e64 v17, 0, -1, vcc_lo
	v_cmp_le_u32_e32 vcc_lo, s29, v3
	v_cndmask_b32_e64 v18, 0, -1, vcc_lo
	;; [unrolled: 2-line block ×4, first 2 shown]
	v_cmp_eq_u32_e32 vcc_lo, s29, v3
	v_cndmask_b32_e32 v3, v18, v17, vcc_lo
	v_cmp_eq_u32_e32 vcc_lo, s29, v22
	v_add_nc_u64_e32 v[18:19], 2, v[14:15]
	v_cndmask_b32_e32 v13, v23, v13, vcc_lo
	s_delay_alu instid0(VALU_DEP_4) | instskip(NEXT) | instid1(VALU_DEP_2)
	v_cmp_ne_u32_e32 vcc_lo, 0, v3
	v_cmp_ne_u32_e64 s0, 0, v13
	s_delay_alu instid0(VALU_DEP_4) | instskip(NEXT) | instid1(VALU_DEP_1)
	v_dual_cndmask_b32 v13, v20, v18, vcc_lo :: v_dual_cndmask_b32 v3, v21, v19, vcc_lo
	v_dual_cndmask_b32 v14, v14, v13, s0 :: v_dual_cndmask_b32 v3, v15, v3, s0
	s_delay_alu instid0(VALU_DEP_1) | instskip(NEXT) | instid1(VALU_DEP_2)
	v_dual_mov_b32 v13, v12 :: v_dual_bitop2_b32 v14, v14, v12 bitop3:0x14
	v_xor_b32_e32 v15, v3, v12
	s_delay_alu instid0(VALU_DEP_1)
	v_sub_nc_u64_e32 v[12:13], v[14:15], v[12:13]
                                        ; implicit-def: $vgpr14_vgpr15
.LBB6_9:                                ;   in Loop: Header=BB6_2 Depth=1
	s_and_not1_saveexec_b32 s0, s25
	s_cbranch_execz .LBB6_11
; %bb.10:                               ;   in Loop: Header=BB6_2 Depth=1
	v_cvt_f32_u32_e32 v3, s12
	s_sub_co_i32 s2, 0, s12
	s_delay_alu instid0(VALU_DEP_1) | instskip(SKIP_1) | instid1(TRANS32_DEP_1)
	v_rcp_iflag_f32_e32 v3, v3
	v_nop
	v_mul_f32_e32 v3, 0x4f7ffffe, v3
	s_delay_alu instid0(VALU_DEP_1) | instskip(NEXT) | instid1(VALU_DEP_1)
	v_cvt_u32_f32_e32 v3, v3
	v_mul_lo_u32 v12, s2, v3
	s_delay_alu instid0(VALU_DEP_1) | instskip(NEXT) | instid1(VALU_DEP_1)
	v_mul_hi_u32 v12, v3, v12
	v_add_nc_u32_e32 v3, v3, v12
	s_delay_alu instid0(VALU_DEP_1) | instskip(NEXT) | instid1(VALU_DEP_1)
	v_mul_hi_u32 v3, v14, v3
	v_mul_lo_u32 v12, v3, s12
	s_delay_alu instid0(VALU_DEP_1) | instskip(NEXT) | instid1(VALU_DEP_1)
	v_dual_add_nc_u32 v13, 1, v3 :: v_dual_sub_nc_u32 v12, v14, v12
	v_subrev_nc_u32_e32 v14, s12, v12
	v_cmp_le_u32_e32 vcc_lo, s12, v12
	s_delay_alu instid0(VALU_DEP_2) | instskip(NEXT) | instid1(VALU_DEP_1)
	v_dual_cndmask_b32 v12, v12, v14 :: v_dual_cndmask_b32 v3, v3, v13
	v_cmp_le_u32_e32 vcc_lo, s12, v12
	s_delay_alu instid0(VALU_DEP_2) | instskip(NEXT) | instid1(VALU_DEP_1)
	v_add_nc_u32_e32 v13, 1, v3
	v_dual_cndmask_b32 v12, v3, v13 :: v_dual_mov_b32 v13, v2
.LBB6_11:                               ;   in Loop: Header=BB6_2 Depth=1
	s_or_b32 exec_lo, exec_lo, s0
	s_delay_alu instid0(VALU_DEP_1) | instskip(SKIP_1) | instid1(VALU_DEP_1)
	v_or_b32_e32 v3, s11, v13
                                        ; implicit-def: $vgpr14_vgpr15
	s_mov_b32 s0, exec_lo
	v_cmpx_ne_u64_e32 0, v[2:3]
	s_xor_b32 s25, exec_lo, s0
	s_cbranch_execz .LBB6_13
; %bb.12:                               ;   in Loop: Header=BB6_2 Depth=1
	s_ashr_i32 s28, s11, 31
	v_dual_mov_b32 v21, v2 :: v_dual_ashrrev_i32 v14, 31, v13
	s_mov_b32 s29, s28
	v_mov_b32_e32 v25, v2
	s_add_nc_u64 s[30:31], s[10:11], s[28:29]
	s_delay_alu instid0(VALU_DEP_2)
	v_mov_b32_e32 v15, v14
	s_xor_b64 s[30:31], s[30:31], s[28:29]
	v_mov_b32_e32 v29, v2
	s_cvt_f32_u32 s0, s30
	s_cvt_f32_u32 s2, s31
	s_sub_nc_u64 s[40:41], 0, s[30:31]
	v_add_nc_u64_e32 v[18:19], v[12:13], v[14:15]
	s_delay_alu instid0(SALU_CYCLE_1) | instskip(NEXT) | instid1(SALU_CYCLE_3)
	s_fmamk_f32 s0, s2, 0x4f800000, s0
	v_s_rcp_f32 s0, s0
	s_delay_alu instid0(VALU_DEP_1) | instskip(NEXT) | instid1(VALU_DEP_2)
	v_xor_b32_e32 v24, v19, v14
	v_xor_b32_e32 v20, v18, v14
	;; [unrolled: 1-line block ×3, first 2 shown]
	s_delay_alu instid0(TRANS32_DEP_1) | instskip(NEXT) | instid1(SALU_CYCLE_3)
	s_mul_f32 s0, s0, 0x5f7ffffc
	s_mul_f32 s2, s0, 0x2f800000
	s_delay_alu instid0(SALU_CYCLE_3) | instskip(NEXT) | instid1(SALU_CYCLE_3)
	s_trunc_f32 s2, s2
	s_fmamk_f32 s0, s2, 0xcf800000, s0
	s_cvt_u32_f32 s39, s2
	s_delay_alu instid0(SALU_CYCLE_2) | instskip(NEXT) | instid1(SALU_CYCLE_3)
	s_cvt_u32_f32 s38, s0
	s_mul_u64 s[42:43], s[40:41], s[38:39]
	s_delay_alu instid0(SALU_CYCLE_1)
	s_mul_hi_u32 s45, s38, s43
	s_mul_i32 s44, s38, s43
	s_mul_hi_u32 s2, s38, s42
	s_mul_i32 s27, s39, s42
	s_add_nc_u64 s[44:45], s[2:3], s[44:45]
	s_mul_hi_u32 s0, s39, s42
	s_mul_hi_u32 s29, s39, s43
	s_add_co_u32 s2, s44, s27
	s_add_co_ci_u32 s2, s45, s0
	s_mul_i32 s42, s39, s43
	s_add_co_ci_u32 s43, s29, 0
	s_delay_alu instid0(SALU_CYCLE_1) | instskip(NEXT) | instid1(SALU_CYCLE_1)
	s_add_nc_u64 s[42:43], s[2:3], s[42:43]
	s_add_co_u32 s38, s38, s42
	s_cselect_b32 s0, -1, 0
	s_delay_alu instid0(SALU_CYCLE_1) | instskip(SKIP_1) | instid1(SALU_CYCLE_1)
	s_cmp_lg_u32 s0, 0
	s_add_co_ci_u32 s39, s39, s43
	s_mul_u64 s[40:41], s[40:41], s[38:39]
	s_delay_alu instid0(SALU_CYCLE_1)
	s_mul_hi_u32 s43, s38, s41
	s_mul_i32 s42, s38, s41
	s_mul_hi_u32 s2, s38, s40
	s_mul_i32 s27, s39, s40
	s_add_nc_u64 s[42:43], s[2:3], s[42:43]
	s_mul_hi_u32 s0, s39, s40
	s_mul_hi_u32 s29, s39, s41
	s_add_co_u32 s2, s42, s27
	s_add_co_ci_u32 s2, s43, s0
	s_mul_i32 s40, s39, s41
	s_add_co_ci_u32 s41, s29, 0
	s_delay_alu instid0(SALU_CYCLE_1) | instskip(NEXT) | instid1(SALU_CYCLE_1)
	s_add_nc_u64 s[40:41], s[2:3], s[40:41]
	s_add_co_u32 s0, s38, s40
	s_cselect_b32 s2, -1, 0
	v_mul_hi_u32 v28, v20, s0
	s_cmp_lg_u32 s2, 0
	s_add_co_ci_u32 s2, s39, s41
	s_and_b64 s[38:39], s[0:1], s[22:23]
	v_mul_u64_e32 v[22:23], s[2:3], v[20:21]
	v_mul_u64_e32 v[18:19], s[38:39], v[24:25]
	;; [unrolled: 1-line block ×3, first 2 shown]
	s_delay_alu instid0(VALU_DEP_3) | instskip(NEXT) | instid1(VALU_DEP_1)
	v_add_nc_u64_e32 v[22:23], v[28:29], v[22:23]
	v_add_co_u32 v3, vcc_lo, v22, v18
	s_delay_alu instid0(VALU_DEP_2) | instskip(NEXT) | instid1(VALU_DEP_4)
	v_add_co_ci_u32_e32 v28, vcc_lo, v23, v19, vcc_lo
	v_add_co_ci_u32_e32 v27, vcc_lo, 0, v27, vcc_lo
	s_delay_alu instid0(VALU_DEP_1) | instskip(NEXT) | instid1(VALU_DEP_1)
	v_add_nc_u64_e32 v[18:19], v[28:29], v[26:27]
	v_mul_u64_e32 v[22:23], s[30:31], v[18:19]
	s_delay_alu instid0(VALU_DEP_1) | instskip(NEXT) | instid1(VALU_DEP_2)
	v_sub_nc_u32_e32 v3, v24, v23
	v_sub_co_u32 v13, vcc_lo, v20, v22
	s_delay_alu instid0(VALU_DEP_1) | instskip(NEXT) | instid1(VALU_DEP_3)
	v_sub_co_ci_u32_e64 v17, null, v24, v23, vcc_lo
	v_subrev_co_ci_u32_e64 v3, null, s31, v3, vcc_lo
	s_delay_alu instid0(VALU_DEP_3) | instskip(SKIP_1) | instid1(VALU_DEP_3)
	v_sub_co_u32 v15, s0, v13, s30
	v_add_nc_u64_e32 v[22:23], 1, v[18:19]
	v_subrev_co_ci_u32_e64 v3, null, 0, v3, s0
	s_delay_alu instid0(VALU_DEP_3) | instskip(SKIP_1) | instid1(VALU_DEP_3)
	v_cmp_le_u32_e32 vcc_lo, s30, v15
	v_cndmask_b32_e64 v15, 0, -1, vcc_lo
	v_cmp_le_u32_e32 vcc_lo, s31, v3
	v_cndmask_b32_e64 v20, 0, -1, vcc_lo
	;; [unrolled: 2-line block ×4, first 2 shown]
	v_cmp_eq_u32_e32 vcc_lo, s31, v3
	v_cndmask_b32_e32 v3, v20, v15, vcc_lo
	v_cmp_eq_u32_e32 vcc_lo, s31, v17
	v_add_nc_u64_e32 v[20:21], 2, v[18:19]
	v_dual_mov_b32 v15, v14 :: v_dual_cndmask_b32 v13, v24, v13, vcc_lo
	s_delay_alu instid0(VALU_DEP_4) | instskip(NEXT) | instid1(VALU_DEP_2)
	v_cmp_ne_u32_e32 vcc_lo, 0, v3
	v_cmp_ne_u32_e64 s0, 0, v13
	s_delay_alu instid0(VALU_DEP_4) | instskip(NEXT) | instid1(VALU_DEP_1)
	v_dual_cndmask_b32 v3, v23, v21, vcc_lo :: v_dual_cndmask_b32 v13, v22, v20, vcc_lo
	v_dual_cndmask_b32 v3, v19, v3, s0 :: v_dual_cndmask_b32 v13, v18, v13, s0
	s_delay_alu instid0(VALU_DEP_1) | instskip(NEXT) | instid1(VALU_DEP_2)
	v_xor_b32_e32 v19, v3, v14
	v_xor_b32_e32 v18, v13, v14
	s_delay_alu instid0(VALU_DEP_1)
	v_sub_nc_u64_e32 v[14:15], v[18:19], v[14:15]
.LBB6_13:                               ;   in Loop: Header=BB6_2 Depth=1
	s_and_not1_saveexec_b32 s0, s25
	s_cbranch_execz .LBB6_15
; %bb.14:                               ;   in Loop: Header=BB6_2 Depth=1
	v_cvt_f32_u32_e32 v3, s10
	s_sub_co_i32 s2, 0, s10
	s_delay_alu instid0(VALU_DEP_1) | instskip(SKIP_1) | instid1(TRANS32_DEP_1)
	v_rcp_iflag_f32_e32 v3, v3
	v_nop
	v_mul_f32_e32 v3, 0x4f7ffffe, v3
	s_delay_alu instid0(VALU_DEP_1) | instskip(NEXT) | instid1(VALU_DEP_1)
	v_cvt_u32_f32_e32 v3, v3
	v_mul_lo_u32 v13, s2, v3
	s_delay_alu instid0(VALU_DEP_1) | instskip(NEXT) | instid1(VALU_DEP_1)
	v_mul_hi_u32 v13, v3, v13
	v_add_nc_u32_e32 v3, v3, v13
	s_delay_alu instid0(VALU_DEP_1) | instskip(NEXT) | instid1(VALU_DEP_1)
	v_mul_hi_u32 v3, v12, v3
	v_mul_lo_u32 v13, v3, s10
	s_delay_alu instid0(VALU_DEP_1) | instskip(NEXT) | instid1(VALU_DEP_1)
	v_dual_add_nc_u32 v14, 1, v3 :: v_dual_sub_nc_u32 v13, v12, v13
	v_subrev_nc_u32_e32 v15, s10, v13
	v_cmp_le_u32_e32 vcc_lo, s10, v13
	s_delay_alu instid0(VALU_DEP_2) | instskip(NEXT) | instid1(VALU_DEP_1)
	v_dual_cndmask_b32 v13, v13, v15, vcc_lo :: v_dual_cndmask_b32 v3, v3, v14, vcc_lo
	v_cmp_le_u32_e32 vcc_lo, s10, v13
	s_delay_alu instid0(VALU_DEP_2) | instskip(NEXT) | instid1(VALU_DEP_1)
	v_add_nc_u32_e32 v14, 1, v3
	v_cndmask_b32_e32 v14, v3, v14, vcc_lo
.LBB6_15:                               ;   in Loop: Header=BB6_2 Depth=1
	s_or_b32 exec_lo, exec_lo, s0
	v_lshl_add_u64 v[10:11], v[10:11], 2, s[6:7]
	v_add_nc_u64_e32 v[0:1], s[18:19], v[0:1]
	v_add_nc_u64_e32 v[6:7], s[20:21], v[6:7]
	s_and_not1_b32 s0, s35, exec_lo
	s_and_not1_b32 s34, s34, exec_lo
	global_load_b32 v3, v[10:11], off
	s_wait_xcnt 0x0
	v_mul_lo_u32 v10, v14, s10
	v_cmp_le_i64_e32 vcc_lo, s[4:5], v[0:1]
	s_and_b32 s2, vcc_lo, exec_lo
	s_delay_alu instid0(VALU_DEP_2) | instskip(SKIP_2) | instid1(VALU_DEP_2)
	v_sub_nc_u32_e32 v10, v12, v10
	v_ashrrev_i32_e32 v12, 31, v14
	s_or_b32 s35, s0, s2
	v_ashrrev_i32_e32 v11, 31, v10
	s_delay_alu instid0(VALU_DEP_1) | instskip(NEXT) | instid1(VALU_DEP_1)
	v_mad_nc_u64_u32 v[10:11], v14, s10, v[10:11]
	v_mad_u32 v11, v12, s10, v11
	s_delay_alu instid0(VALU_DEP_1) | instskip(NEXT) | instid1(VALU_DEP_1)
	v_mad_u32 v11, v14, s11, v11
	v_mul_u64_e32 v[10:11], s[16:17], v[10:11]
	s_delay_alu instid0(VALU_DEP_1) | instskip(NEXT) | instid1(VALU_DEP_1)
	v_lshl_add_u64 v[4:5], v[10:11], 2, v[4:5]
	v_lshl_add_u64 v[8:9], v[8:9], 2, v[4:5]
	s_wait_loadcnt 0x0
	global_store_b32 v[8:9], v3, off
.LBB6_16:                               ;   in Loop: Header=BB6_2 Depth=1
	s_wait_xcnt 0x0
	s_or_b32 exec_lo, exec_lo, s36
	s_delay_alu instid0(SALU_CYCLE_1) | instskip(NEXT) | instid1(SALU_CYCLE_1)
	s_and_b32 s0, exec_lo, s35
	s_or_b32 s1, s0, s1
	s_and_not1_b32 s0, s33, exec_lo
	s_and_b32 s2, s34, exec_lo
	s_delay_alu instid0(SALU_CYCLE_1)
	s_or_b32 s33, s0, s2
	s_and_not1_b32 exec_lo, exec_lo, s1
	s_cbranch_execnz .LBB6_2
; %bb.17:
	s_or_b32 exec_lo, exec_lo, s1
	s_and_saveexec_b32 s0, s33
	s_delay_alu instid0(SALU_CYCLE_1)
	s_xor_b32 s0, exec_lo, s0
	s_cbranch_execnz .LBB6_19
.LBB6_18:
	s_endpgm
.LBB6_19:
	s_trap 2
	; divergent unreachable
	s_endpgm
	.section	.rodata,"a",@progbits
	.p2align	6, 0x0
	.amdhsa_kernel _ZN2at6native30max_unpooling2d_forward_kernelIfEEvlPKT_PKllllllPS2_
		.amdhsa_group_segment_fixed_size 0
		.amdhsa_private_segment_fixed_size 0
		.amdhsa_kernarg_size 328
		.amdhsa_user_sgpr_count 2
		.amdhsa_user_sgpr_dispatch_ptr 0
		.amdhsa_user_sgpr_queue_ptr 0
		.amdhsa_user_sgpr_kernarg_segment_ptr 1
		.amdhsa_user_sgpr_dispatch_id 0
		.amdhsa_user_sgpr_kernarg_preload_length 0
		.amdhsa_user_sgpr_kernarg_preload_offset 0
		.amdhsa_user_sgpr_private_segment_size 0
		.amdhsa_wavefront_size32 1
		.amdhsa_uses_dynamic_stack 0
		.amdhsa_enable_private_segment 0
		.amdhsa_system_sgpr_workgroup_id_x 1
		.amdhsa_system_sgpr_workgroup_id_y 0
		.amdhsa_system_sgpr_workgroup_id_z 0
		.amdhsa_system_sgpr_workgroup_info 0
		.amdhsa_system_vgpr_workitem_id 0
		.amdhsa_next_free_vgpr 30
		.amdhsa_next_free_sgpr 46
		.amdhsa_named_barrier_count 0
		.amdhsa_reserve_vcc 1
		.amdhsa_float_round_mode_32 0
		.amdhsa_float_round_mode_16_64 0
		.amdhsa_float_denorm_mode_32 3
		.amdhsa_float_denorm_mode_16_64 3
		.amdhsa_fp16_overflow 0
		.amdhsa_memory_ordered 1
		.amdhsa_forward_progress 1
		.amdhsa_inst_pref_size 22
		.amdhsa_round_robin_scheduling 0
		.amdhsa_exception_fp_ieee_invalid_op 0
		.amdhsa_exception_fp_denorm_src 0
		.amdhsa_exception_fp_ieee_div_zero 0
		.amdhsa_exception_fp_ieee_overflow 0
		.amdhsa_exception_fp_ieee_underflow 0
		.amdhsa_exception_fp_ieee_inexact 0
		.amdhsa_exception_int_div_zero 0
	.end_amdhsa_kernel
	.section	.text._ZN2at6native30max_unpooling2d_forward_kernelIfEEvlPKT_PKllllllPS2_,"axG",@progbits,_ZN2at6native30max_unpooling2d_forward_kernelIfEEvlPKT_PKllllllPS2_,comdat
.Lfunc_end6:
	.size	_ZN2at6native30max_unpooling2d_forward_kernelIfEEvlPKT_PKllllllPS2_, .Lfunc_end6-_ZN2at6native30max_unpooling2d_forward_kernelIfEEvlPKT_PKllllllPS2_
                                        ; -- End function
	.set _ZN2at6native30max_unpooling2d_forward_kernelIfEEvlPKT_PKllllllPS2_.num_vgpr, 30
	.set _ZN2at6native30max_unpooling2d_forward_kernelIfEEvlPKT_PKllllllPS2_.num_agpr, 0
	.set _ZN2at6native30max_unpooling2d_forward_kernelIfEEvlPKT_PKllllllPS2_.numbered_sgpr, 46
	.set _ZN2at6native30max_unpooling2d_forward_kernelIfEEvlPKT_PKllllllPS2_.num_named_barrier, 0
	.set _ZN2at6native30max_unpooling2d_forward_kernelIfEEvlPKT_PKllllllPS2_.private_seg_size, 0
	.set _ZN2at6native30max_unpooling2d_forward_kernelIfEEvlPKT_PKllllllPS2_.uses_vcc, 1
	.set _ZN2at6native30max_unpooling2d_forward_kernelIfEEvlPKT_PKllllllPS2_.uses_flat_scratch, 0
	.set _ZN2at6native30max_unpooling2d_forward_kernelIfEEvlPKT_PKllllllPS2_.has_dyn_sized_stack, 0
	.set _ZN2at6native30max_unpooling2d_forward_kernelIfEEvlPKT_PKllllllPS2_.has_recursion, 0
	.set _ZN2at6native30max_unpooling2d_forward_kernelIfEEvlPKT_PKllllllPS2_.has_indirect_call, 0
	.section	.AMDGPU.csdata,"",@progbits
; Kernel info:
; codeLenInByte = 2696
; TotalNumSgprs: 48
; NumVgprs: 30
; ScratchSize: 0
; MemoryBound: 0
; FloatMode: 240
; IeeeMode: 1
; LDSByteSize: 0 bytes/workgroup (compile time only)
; SGPRBlocks: 0
; VGPRBlocks: 1
; NumSGPRsForWavesPerEU: 48
; NumVGPRsForWavesPerEU: 30
; NamedBarCnt: 0
; Occupancy: 16
; WaveLimiterHint : 1
; COMPUTE_PGM_RSRC2:SCRATCH_EN: 0
; COMPUTE_PGM_RSRC2:USER_SGPR: 2
; COMPUTE_PGM_RSRC2:TRAP_HANDLER: 0
; COMPUTE_PGM_RSRC2:TGID_X_EN: 1
; COMPUTE_PGM_RSRC2:TGID_Y_EN: 0
; COMPUTE_PGM_RSRC2:TGID_Z_EN: 0
; COMPUTE_PGM_RSRC2:TIDIG_COMP_CNT: 0
	.section	.text._ZN2at6native30max_unpooling2d_forward_kernelIN3c104HalfEEEvlPKT_PKllllllPS4_,"axG",@progbits,_ZN2at6native30max_unpooling2d_forward_kernelIN3c104HalfEEEvlPKT_PKllllllPS4_,comdat
	.protected	_ZN2at6native30max_unpooling2d_forward_kernelIN3c104HalfEEEvlPKT_PKllllllPS4_ ; -- Begin function _ZN2at6native30max_unpooling2d_forward_kernelIN3c104HalfEEEvlPKT_PKllllllPS4_
	.globl	_ZN2at6native30max_unpooling2d_forward_kernelIN3c104HalfEEEvlPKT_PKllllllPS4_
	.p2align	8
	.type	_ZN2at6native30max_unpooling2d_forward_kernelIN3c104HalfEEEvlPKT_PKllllllPS4_,@function
_ZN2at6native30max_unpooling2d_forward_kernelIN3c104HalfEEEvlPKT_PKllllllPS4_: ; @_ZN2at6native30max_unpooling2d_forward_kernelIN3c104HalfEEEvlPKT_PKllllllPS4_
; %bb.0:
	s_load_b32 s2, s[0:1], 0x54
	s_bfe_u32 s4, ttmp6, 0x4000c
	v_mov_b32_e32 v2, 0
	s_add_co_i32 s21, s4, 1
	s_load_b512 s[4:19], s[0:1], 0x0
	s_and_b32 s3, ttmp6, 15
	s_mul_i32 s21, ttmp9, s21
	s_getreg_b32 s20, hwreg(HW_REG_IB_STS2, 6, 4)
	v_mov_b32_e32 v1, v2
	s_add_co_i32 s3, s3, s21
	s_wait_kmcnt 0x0
	s_and_b32 s2, s2, 0xffff
	s_cmp_eq_u32 s20, 0
	s_mov_b32 s20, exec_lo
	s_cselect_b32 s3, ttmp9, s3
	s_delay_alu instid0(SALU_CYCLE_1) | instskip(SKIP_1) | instid1(VALU_DEP_1)
	v_mad_nc_u64_u32 v[0:1], s2, s3, v[0:1]
	s_mov_b32 s3, 0
	v_cmpx_gt_i64_e64 s[4:5], v[0:1]
	s_cbranch_execz .LBB7_18
; %bb.1:
	v_cvt_f32_u32_e32 v3, s14
	s_sub_co_i32 s22, 0, s14
	s_add_nc_u64 s[20:21], s[0:1], 0x48
	s_load_b64 s[0:1], s[0:1], 0x40
	s_mul_u64 s[16:17], s[18:19], s[16:17]
	v_rcp_iflag_f32_e32 v3, v3
	s_load_b32 s21, s[20:21], 0x0
	s_mov_b32 s19, s3
	s_wait_xcnt 0x0
	s_mov_b32 s20, s3
	s_ashr_i32 s24, s15, 31
	s_ashr_i32 s26, s13, 31
                                        ; implicit-def: $sgpr33
                                        ; implicit-def: $sgpr35
                                        ; implicit-def: $sgpr34
	v_nop
	v_mul_f32_e32 v3, 0x4f7ffffe, v3
	s_delay_alu instid0(VALU_DEP_1) | instskip(NEXT) | instid1(VALU_DEP_1)
	v_cvt_u32_f32_e32 v6, v3
	v_mul_lo_u32 v3, s22, v6
	s_wait_kmcnt 0x0
	v_mov_b64_e32 v[4:5], s[0:1]
	s_mov_b64 s[22:23], 0xffffffff
	s_mov_b32 s1, 0
	s_mul_i32 s18, s21, s2
	s_delay_alu instid0(SALU_CYCLE_1) | instskip(NEXT) | instid1(VALU_DEP_2)
	s_mov_b32 s21, s18
	v_mul_hi_u32 v7, v6, v3
	s_delay_alu instid0(VALU_DEP_1) | instskip(NEXT) | instid1(VALU_DEP_1)
	v_dual_mov_b32 v3, v0 :: v_dual_add_nc_u32 v16, v6, v7
	v_mov_b64_e32 v[6:7], v[2:3]
.LBB7_2:                                ; =>This Inner Loop Header: Depth=1
	s_delay_alu instid0(VALU_DEP_1) | instskip(SKIP_2) | instid1(VALU_DEP_1)
	v_ashrrev_i64 v[8:9], 29, v[6:7]
	s_or_b32 s34, s34, exec_lo
	s_or_b32 s35, s35, exec_lo
	v_add_nc_u64_e32 v[8:9], s[8:9], v[8:9]
	global_load_b64 v[8:9], v[8:9], off
	s_wait_loadcnt 0x0
	s_wait_xcnt 0x0
	v_ashrrev_i32_e32 v9, 31, v8
	v_cmp_lt_i32_e64 s0, -1, v8
	s_delay_alu instid0(VALU_DEP_2) | instskip(SKIP_1) | instid1(SALU_CYCLE_1)
	v_cmp_gt_i64_e32 vcc_lo, s[16:17], v[8:9]
	s_and_b32 s0, s0, vcc_lo
	s_and_saveexec_b32 s36, s0
	s_cbranch_execz .LBB7_16
; %bb.3:                                ;   in Loop: Header=BB7_2 Depth=1
	v_dual_mov_b32 v10, v7 :: v_dual_ashrrev_i32 v11, 31, v7
                                        ; implicit-def: $vgpr14_vgpr15
	s_mov_b32 s0, exec_lo
	s_delay_alu instid0(VALU_DEP_1) | instskip(NEXT) | instid1(VALU_DEP_1)
	v_or_b32_e32 v3, s15, v11
	v_cmpx_ne_u64_e32 0, v[2:3]
	s_xor_b32 s27, exec_lo, s0
	s_cbranch_execz .LBB7_5
; %bb.4:                                ;   in Loop: Header=BB7_2 Depth=1
	s_mov_b32 s25, s24
	v_dual_mov_b32 v19, v2 :: v_dual_ashrrev_i32 v12, 31, v11
	s_add_nc_u64 s[28:29], s[14:15], s[24:25]
	v_mov_b32_e32 v27, v2
	s_xor_b64 s[28:29], s[28:29], s[24:25]
	s_delay_alu instid0(VALU_DEP_2) | instskip(SKIP_3) | instid1(VALU_DEP_1)
	v_mov_b32_e32 v13, v12
	s_cvt_f32_u32 s0, s28
	s_cvt_f32_u32 s2, s29
	s_sub_nc_u64 s[38:39], 0, s[28:29]
	v_add_nc_u64_e32 v[14:15], v[10:11], v[12:13]
	s_delay_alu instid0(SALU_CYCLE_1) | instskip(SKIP_1) | instid1(SALU_CYCLE_2)
	s_fmamk_f32 s0, s2, 0x4f800000, s0
	v_mov_b32_e32 v23, v2
	v_s_rcp_f32 s0, s0
	s_delay_alu instid0(VALU_DEP_2) | instskip(NEXT) | instid1(VALU_DEP_3)
	v_xor_b32_e32 v18, v14, v12
	v_xor_b32_e32 v22, v15, v12
	;; [unrolled: 1-line block ×3, first 2 shown]
	s_delay_alu instid0(TRANS32_DEP_1) | instskip(NEXT) | instid1(SALU_CYCLE_3)
	s_mul_f32 s0, s0, 0x5f7ffffc
	s_mul_f32 s2, s0, 0x2f800000
	s_delay_alu instid0(SALU_CYCLE_3) | instskip(NEXT) | instid1(SALU_CYCLE_3)
	s_trunc_f32 s2, s2
	s_fmamk_f32 s0, s2, 0xcf800000, s0
	s_cvt_u32_f32 s31, s2
	s_delay_alu instid0(SALU_CYCLE_2) | instskip(NEXT) | instid1(SALU_CYCLE_3)
	s_cvt_u32_f32 s30, s0
	s_mul_u64 s[40:41], s[38:39], s[30:31]
	s_delay_alu instid0(SALU_CYCLE_1)
	s_mul_hi_u32 s43, s30, s41
	s_mul_i32 s42, s30, s41
	s_mul_hi_u32 s2, s30, s40
	s_mul_i32 s25, s31, s40
	s_add_nc_u64 s[42:43], s[2:3], s[42:43]
	s_mul_hi_u32 s0, s31, s40
	s_mul_hi_u32 s37, s31, s41
	s_add_co_u32 s2, s42, s25
	s_add_co_ci_u32 s2, s43, s0
	s_mul_i32 s40, s31, s41
	s_add_co_ci_u32 s41, s37, 0
	s_delay_alu instid0(SALU_CYCLE_1) | instskip(NEXT) | instid1(SALU_CYCLE_1)
	s_add_nc_u64 s[40:41], s[2:3], s[40:41]
	s_add_co_u32 s30, s30, s40
	s_cselect_b32 s0, -1, 0
	s_delay_alu instid0(SALU_CYCLE_1) | instskip(SKIP_1) | instid1(SALU_CYCLE_1)
	s_cmp_lg_u32 s0, 0
	s_add_co_ci_u32 s31, s31, s41
	s_mul_u64 s[38:39], s[38:39], s[30:31]
	s_delay_alu instid0(SALU_CYCLE_1)
	s_mul_hi_u32 s41, s30, s39
	s_mul_i32 s40, s30, s39
	s_mul_hi_u32 s2, s30, s38
	s_mul_i32 s25, s31, s38
	s_add_nc_u64 s[40:41], s[2:3], s[40:41]
	s_mul_hi_u32 s0, s31, s38
	s_mul_hi_u32 s37, s31, s39
	s_add_co_u32 s2, s40, s25
	s_add_co_ci_u32 s2, s41, s0
	s_mul_i32 s38, s31, s39
	s_add_co_ci_u32 s39, s37, 0
	s_delay_alu instid0(SALU_CYCLE_1) | instskip(NEXT) | instid1(SALU_CYCLE_1)
	s_add_nc_u64 s[38:39], s[2:3], s[38:39]
	s_add_co_u32 s0, s30, s38
	s_cselect_b32 s2, -1, 0
	v_mul_hi_u32 v26, v18, s0
	s_cmp_lg_u32 s2, 0
	s_add_co_ci_u32 s2, s31, s39
	s_and_b64 s[30:31], s[0:1], s[22:23]
	v_mul_u64_e32 v[20:21], s[2:3], v[18:19]
	v_mul_u64_e32 v[14:15], s[30:31], v[22:23]
	;; [unrolled: 1-line block ×3, first 2 shown]
	s_delay_alu instid0(VALU_DEP_3) | instskip(NEXT) | instid1(VALU_DEP_1)
	v_add_nc_u64_e32 v[20:21], v[26:27], v[20:21]
	v_add_co_u32 v3, vcc_lo, v20, v14
	s_delay_alu instid0(VALU_DEP_2) | instskip(NEXT) | instid1(VALU_DEP_4)
	v_add_co_ci_u32_e32 v26, vcc_lo, v21, v15, vcc_lo
	v_add_co_ci_u32_e32 v25, vcc_lo, 0, v25, vcc_lo
	s_delay_alu instid0(VALU_DEP_1) | instskip(NEXT) | instid1(VALU_DEP_1)
	v_add_nc_u64_e32 v[14:15], v[26:27], v[24:25]
	v_mul_u64_e32 v[20:21], s[28:29], v[14:15]
	s_delay_alu instid0(VALU_DEP_1) | instskip(NEXT) | instid1(VALU_DEP_2)
	v_sub_nc_u32_e32 v3, v22, v21
	v_sub_co_u32 v13, vcc_lo, v18, v20
	s_delay_alu instid0(VALU_DEP_1) | instskip(NEXT) | instid1(VALU_DEP_3)
	v_sub_co_ci_u32_e64 v22, null, v22, v21, vcc_lo
	v_subrev_co_ci_u32_e64 v3, null, s29, v3, vcc_lo
	s_delay_alu instid0(VALU_DEP_3) | instskip(SKIP_1) | instid1(VALU_DEP_3)
	v_sub_co_u32 v17, s0, v13, s28
	v_add_nc_u64_e32 v[20:21], 1, v[14:15]
	v_subrev_co_ci_u32_e64 v3, null, 0, v3, s0
	s_delay_alu instid0(VALU_DEP_3) | instskip(SKIP_1) | instid1(VALU_DEP_3)
	v_cmp_le_u32_e32 vcc_lo, s28, v17
	v_cndmask_b32_e64 v17, 0, -1, vcc_lo
	v_cmp_le_u32_e32 vcc_lo, s29, v3
	v_cndmask_b32_e64 v18, 0, -1, vcc_lo
	;; [unrolled: 2-line block ×4, first 2 shown]
	v_cmp_eq_u32_e32 vcc_lo, s29, v3
	v_cndmask_b32_e32 v3, v18, v17, vcc_lo
	v_cmp_eq_u32_e32 vcc_lo, s29, v22
	v_add_nc_u64_e32 v[18:19], 2, v[14:15]
	v_cndmask_b32_e32 v13, v23, v13, vcc_lo
	s_delay_alu instid0(VALU_DEP_4) | instskip(NEXT) | instid1(VALU_DEP_2)
	v_cmp_ne_u32_e32 vcc_lo, 0, v3
	v_cmp_ne_u32_e64 s0, 0, v13
	s_delay_alu instid0(VALU_DEP_4) | instskip(NEXT) | instid1(VALU_DEP_1)
	v_dual_cndmask_b32 v13, v20, v18, vcc_lo :: v_dual_cndmask_b32 v3, v21, v19, vcc_lo
	v_dual_cndmask_b32 v14, v14, v13, s0 :: v_dual_cndmask_b32 v3, v15, v3, s0
	s_delay_alu instid0(VALU_DEP_1) | instskip(NEXT) | instid1(VALU_DEP_2)
	v_dual_mov_b32 v13, v12 :: v_dual_bitop2_b32 v14, v14, v12 bitop3:0x14
	v_xor_b32_e32 v15, v3, v12
	s_delay_alu instid0(VALU_DEP_1)
	v_sub_nc_u64_e32 v[14:15], v[14:15], v[12:13]
.LBB7_5:                                ;   in Loop: Header=BB7_2 Depth=1
	s_and_not1_saveexec_b32 s0, s27
	s_cbranch_execz .LBB7_7
; %bb.6:                                ;   in Loop: Header=BB7_2 Depth=1
	v_mul_hi_u32 v3, v7, v16
	v_mov_b32_e32 v15, v2
	s_delay_alu instid0(VALU_DEP_2) | instskip(NEXT) | instid1(VALU_DEP_1)
	v_mul_lo_u32 v12, v3, s14
	v_dual_add_nc_u32 v13, 1, v3 :: v_dual_sub_nc_u32 v12, v7, v12
	s_delay_alu instid0(VALU_DEP_1) | instskip(SKIP_1) | instid1(VALU_DEP_2)
	v_subrev_nc_u32_e32 v14, s14, v12
	v_cmp_le_u32_e32 vcc_lo, s14, v12
	v_dual_cndmask_b32 v12, v12, v14 :: v_dual_cndmask_b32 v3, v3, v13
	s_delay_alu instid0(VALU_DEP_1) | instskip(NEXT) | instid1(VALU_DEP_2)
	v_cmp_le_u32_e32 vcc_lo, s14, v12
	v_add_nc_u32_e32 v13, 1, v3
	s_delay_alu instid0(VALU_DEP_1)
	v_cndmask_b32_e32 v14, v3, v13, vcc_lo
.LBB7_7:                                ;   in Loop: Header=BB7_2 Depth=1
	s_or_b32 exec_lo, exec_lo, s0
	s_delay_alu instid0(VALU_DEP_1) | instskip(SKIP_1) | instid1(VALU_DEP_1)
	v_or_b32_e32 v3, s13, v15
                                        ; implicit-def: $vgpr12_vgpr13
	s_mov_b32 s0, exec_lo
	v_cmpx_ne_u64_e32 0, v[2:3]
	s_xor_b32 s25, exec_lo, s0
	s_cbranch_execz .LBB7_9
; %bb.8:                                ;   in Loop: Header=BB7_2 Depth=1
	s_mov_b32 s27, s26
	v_dual_mov_b32 v19, v2 :: v_dual_ashrrev_i32 v12, 31, v15
	s_add_nc_u64 s[28:29], s[12:13], s[26:27]
	v_mov_b32_e32 v27, v2
	s_xor_b64 s[28:29], s[28:29], s[26:27]
	s_delay_alu instid0(VALU_DEP_2) | instskip(SKIP_3) | instid1(VALU_DEP_1)
	v_mov_b32_e32 v13, v12
	s_cvt_f32_u32 s0, s28
	s_cvt_f32_u32 s2, s29
	s_sub_nc_u64 s[38:39], 0, s[28:29]
	v_add_nc_u64_e32 v[14:15], v[14:15], v[12:13]
	s_delay_alu instid0(SALU_CYCLE_1) | instskip(SKIP_1) | instid1(SALU_CYCLE_2)
	s_fmamk_f32 s0, s2, 0x4f800000, s0
	v_mov_b32_e32 v23, v2
	v_s_rcp_f32 s0, s0
	s_delay_alu instid0(VALU_DEP_2) | instskip(NEXT) | instid1(VALU_DEP_3)
	v_xor_b32_e32 v18, v14, v12
	v_xor_b32_e32 v22, v15, v12
	;; [unrolled: 1-line block ×3, first 2 shown]
	s_delay_alu instid0(TRANS32_DEP_1) | instskip(NEXT) | instid1(SALU_CYCLE_3)
	s_mul_f32 s0, s0, 0x5f7ffffc
	s_mul_f32 s2, s0, 0x2f800000
	s_delay_alu instid0(SALU_CYCLE_3) | instskip(NEXT) | instid1(SALU_CYCLE_3)
	s_trunc_f32 s2, s2
	s_fmamk_f32 s0, s2, 0xcf800000, s0
	s_cvt_u32_f32 s31, s2
	s_delay_alu instid0(SALU_CYCLE_2) | instskip(NEXT) | instid1(SALU_CYCLE_3)
	s_cvt_u32_f32 s30, s0
	s_mul_u64 s[40:41], s[38:39], s[30:31]
	s_delay_alu instid0(SALU_CYCLE_1)
	s_mul_hi_u32 s43, s30, s41
	s_mul_i32 s42, s30, s41
	s_mul_hi_u32 s2, s30, s40
	s_mul_i32 s27, s31, s40
	s_add_nc_u64 s[42:43], s[2:3], s[42:43]
	s_mul_hi_u32 s0, s31, s40
	s_mul_hi_u32 s37, s31, s41
	s_add_co_u32 s2, s42, s27
	s_add_co_ci_u32 s2, s43, s0
	s_mul_i32 s40, s31, s41
	s_add_co_ci_u32 s41, s37, 0
	s_delay_alu instid0(SALU_CYCLE_1) | instskip(NEXT) | instid1(SALU_CYCLE_1)
	s_add_nc_u64 s[40:41], s[2:3], s[40:41]
	s_add_co_u32 s30, s30, s40
	s_cselect_b32 s0, -1, 0
	s_delay_alu instid0(SALU_CYCLE_1) | instskip(SKIP_1) | instid1(SALU_CYCLE_1)
	s_cmp_lg_u32 s0, 0
	s_add_co_ci_u32 s31, s31, s41
	s_mul_u64 s[38:39], s[38:39], s[30:31]
	s_delay_alu instid0(SALU_CYCLE_1)
	s_mul_hi_u32 s41, s30, s39
	s_mul_i32 s40, s30, s39
	s_mul_hi_u32 s2, s30, s38
	s_mul_i32 s27, s31, s38
	s_add_nc_u64 s[40:41], s[2:3], s[40:41]
	s_mul_hi_u32 s0, s31, s38
	s_mul_hi_u32 s37, s31, s39
	s_add_co_u32 s2, s40, s27
	s_add_co_ci_u32 s2, s41, s0
	s_mul_i32 s38, s31, s39
	s_add_co_ci_u32 s39, s37, 0
	s_delay_alu instid0(SALU_CYCLE_1) | instskip(NEXT) | instid1(SALU_CYCLE_1)
	s_add_nc_u64 s[38:39], s[2:3], s[38:39]
	s_add_co_u32 s0, s30, s38
	s_cselect_b32 s2, -1, 0
	v_mul_hi_u32 v26, v18, s0
	s_cmp_lg_u32 s2, 0
	s_add_co_ci_u32 s2, s31, s39
	s_and_b64 s[30:31], s[0:1], s[22:23]
	v_mul_u64_e32 v[20:21], s[2:3], v[18:19]
	v_mul_u64_e32 v[14:15], s[30:31], v[22:23]
	;; [unrolled: 1-line block ×3, first 2 shown]
	s_delay_alu instid0(VALU_DEP_3) | instskip(NEXT) | instid1(VALU_DEP_1)
	v_add_nc_u64_e32 v[20:21], v[26:27], v[20:21]
	v_add_co_u32 v3, vcc_lo, v20, v14
	s_delay_alu instid0(VALU_DEP_2) | instskip(NEXT) | instid1(VALU_DEP_4)
	v_add_co_ci_u32_e32 v26, vcc_lo, v21, v15, vcc_lo
	v_add_co_ci_u32_e32 v25, vcc_lo, 0, v25, vcc_lo
	s_delay_alu instid0(VALU_DEP_1) | instskip(NEXT) | instid1(VALU_DEP_1)
	v_add_nc_u64_e32 v[14:15], v[26:27], v[24:25]
	v_mul_u64_e32 v[20:21], s[28:29], v[14:15]
	s_delay_alu instid0(VALU_DEP_1) | instskip(NEXT) | instid1(VALU_DEP_2)
	v_sub_nc_u32_e32 v3, v22, v21
	v_sub_co_u32 v13, vcc_lo, v18, v20
	s_delay_alu instid0(VALU_DEP_1) | instskip(NEXT) | instid1(VALU_DEP_3)
	v_sub_co_ci_u32_e64 v22, null, v22, v21, vcc_lo
	v_subrev_co_ci_u32_e64 v3, null, s29, v3, vcc_lo
	s_delay_alu instid0(VALU_DEP_3) | instskip(SKIP_1) | instid1(VALU_DEP_3)
	v_sub_co_u32 v17, s0, v13, s28
	v_add_nc_u64_e32 v[20:21], 1, v[14:15]
	v_subrev_co_ci_u32_e64 v3, null, 0, v3, s0
	s_delay_alu instid0(VALU_DEP_3) | instskip(SKIP_1) | instid1(VALU_DEP_3)
	v_cmp_le_u32_e32 vcc_lo, s28, v17
	v_cndmask_b32_e64 v17, 0, -1, vcc_lo
	v_cmp_le_u32_e32 vcc_lo, s29, v3
	v_cndmask_b32_e64 v18, 0, -1, vcc_lo
	;; [unrolled: 2-line block ×4, first 2 shown]
	v_cmp_eq_u32_e32 vcc_lo, s29, v3
	v_cndmask_b32_e32 v3, v18, v17, vcc_lo
	v_cmp_eq_u32_e32 vcc_lo, s29, v22
	v_add_nc_u64_e32 v[18:19], 2, v[14:15]
	v_cndmask_b32_e32 v13, v23, v13, vcc_lo
	s_delay_alu instid0(VALU_DEP_4) | instskip(NEXT) | instid1(VALU_DEP_2)
	v_cmp_ne_u32_e32 vcc_lo, 0, v3
	v_cmp_ne_u32_e64 s0, 0, v13
	s_delay_alu instid0(VALU_DEP_4) | instskip(NEXT) | instid1(VALU_DEP_1)
	v_dual_cndmask_b32 v13, v20, v18, vcc_lo :: v_dual_cndmask_b32 v3, v21, v19, vcc_lo
	v_dual_cndmask_b32 v14, v14, v13, s0 :: v_dual_cndmask_b32 v3, v15, v3, s0
	s_delay_alu instid0(VALU_DEP_1) | instskip(NEXT) | instid1(VALU_DEP_2)
	v_dual_mov_b32 v13, v12 :: v_dual_bitop2_b32 v14, v14, v12 bitop3:0x14
	v_xor_b32_e32 v15, v3, v12
	s_delay_alu instid0(VALU_DEP_1)
	v_sub_nc_u64_e32 v[12:13], v[14:15], v[12:13]
                                        ; implicit-def: $vgpr14_vgpr15
.LBB7_9:                                ;   in Loop: Header=BB7_2 Depth=1
	s_and_not1_saveexec_b32 s0, s25
	s_cbranch_execz .LBB7_11
; %bb.10:                               ;   in Loop: Header=BB7_2 Depth=1
	v_cvt_f32_u32_e32 v3, s12
	s_sub_co_i32 s2, 0, s12
	s_delay_alu instid0(VALU_DEP_1) | instskip(SKIP_1) | instid1(TRANS32_DEP_1)
	v_rcp_iflag_f32_e32 v3, v3
	v_nop
	v_mul_f32_e32 v3, 0x4f7ffffe, v3
	s_delay_alu instid0(VALU_DEP_1) | instskip(NEXT) | instid1(VALU_DEP_1)
	v_cvt_u32_f32_e32 v3, v3
	v_mul_lo_u32 v12, s2, v3
	s_delay_alu instid0(VALU_DEP_1) | instskip(NEXT) | instid1(VALU_DEP_1)
	v_mul_hi_u32 v12, v3, v12
	v_add_nc_u32_e32 v3, v3, v12
	s_delay_alu instid0(VALU_DEP_1) | instskip(NEXT) | instid1(VALU_DEP_1)
	v_mul_hi_u32 v3, v14, v3
	v_mul_lo_u32 v12, v3, s12
	s_delay_alu instid0(VALU_DEP_1) | instskip(NEXT) | instid1(VALU_DEP_1)
	v_dual_add_nc_u32 v13, 1, v3 :: v_dual_sub_nc_u32 v12, v14, v12
	v_subrev_nc_u32_e32 v14, s12, v12
	v_cmp_le_u32_e32 vcc_lo, s12, v12
	s_delay_alu instid0(VALU_DEP_2) | instskip(NEXT) | instid1(VALU_DEP_1)
	v_dual_cndmask_b32 v12, v12, v14 :: v_dual_cndmask_b32 v3, v3, v13
	v_cmp_le_u32_e32 vcc_lo, s12, v12
	s_delay_alu instid0(VALU_DEP_2) | instskip(NEXT) | instid1(VALU_DEP_1)
	v_add_nc_u32_e32 v13, 1, v3
	v_dual_cndmask_b32 v12, v3, v13 :: v_dual_mov_b32 v13, v2
.LBB7_11:                               ;   in Loop: Header=BB7_2 Depth=1
	s_or_b32 exec_lo, exec_lo, s0
	s_delay_alu instid0(VALU_DEP_1) | instskip(SKIP_1) | instid1(VALU_DEP_1)
	v_or_b32_e32 v3, s11, v13
                                        ; implicit-def: $vgpr14_vgpr15
	s_mov_b32 s0, exec_lo
	v_cmpx_ne_u64_e32 0, v[2:3]
	s_xor_b32 s25, exec_lo, s0
	s_cbranch_execz .LBB7_13
; %bb.12:                               ;   in Loop: Header=BB7_2 Depth=1
	s_ashr_i32 s28, s11, 31
	v_dual_mov_b32 v21, v2 :: v_dual_ashrrev_i32 v14, 31, v13
	s_mov_b32 s29, s28
	v_mov_b32_e32 v25, v2
	s_add_nc_u64 s[30:31], s[10:11], s[28:29]
	s_delay_alu instid0(VALU_DEP_2)
	v_mov_b32_e32 v15, v14
	s_xor_b64 s[30:31], s[30:31], s[28:29]
	v_mov_b32_e32 v29, v2
	s_cvt_f32_u32 s0, s30
	s_cvt_f32_u32 s2, s31
	s_sub_nc_u64 s[40:41], 0, s[30:31]
	v_add_nc_u64_e32 v[18:19], v[12:13], v[14:15]
	s_delay_alu instid0(SALU_CYCLE_1) | instskip(NEXT) | instid1(SALU_CYCLE_3)
	s_fmamk_f32 s0, s2, 0x4f800000, s0
	v_s_rcp_f32 s0, s0
	s_delay_alu instid0(VALU_DEP_1) | instskip(NEXT) | instid1(VALU_DEP_2)
	v_xor_b32_e32 v24, v19, v14
	v_xor_b32_e32 v20, v18, v14
	v_xor_b32_e32 v14, s28, v14
	s_delay_alu instid0(TRANS32_DEP_1) | instskip(NEXT) | instid1(SALU_CYCLE_3)
	s_mul_f32 s0, s0, 0x5f7ffffc
	s_mul_f32 s2, s0, 0x2f800000
	s_delay_alu instid0(SALU_CYCLE_3) | instskip(NEXT) | instid1(SALU_CYCLE_3)
	s_trunc_f32 s2, s2
	s_fmamk_f32 s0, s2, 0xcf800000, s0
	s_cvt_u32_f32 s39, s2
	s_delay_alu instid0(SALU_CYCLE_2) | instskip(NEXT) | instid1(SALU_CYCLE_3)
	s_cvt_u32_f32 s38, s0
	s_mul_u64 s[42:43], s[40:41], s[38:39]
	s_delay_alu instid0(SALU_CYCLE_1)
	s_mul_hi_u32 s45, s38, s43
	s_mul_i32 s44, s38, s43
	s_mul_hi_u32 s2, s38, s42
	s_mul_i32 s27, s39, s42
	s_add_nc_u64 s[44:45], s[2:3], s[44:45]
	s_mul_hi_u32 s0, s39, s42
	s_mul_hi_u32 s29, s39, s43
	s_add_co_u32 s2, s44, s27
	s_add_co_ci_u32 s2, s45, s0
	s_mul_i32 s42, s39, s43
	s_add_co_ci_u32 s43, s29, 0
	s_delay_alu instid0(SALU_CYCLE_1) | instskip(NEXT) | instid1(SALU_CYCLE_1)
	s_add_nc_u64 s[42:43], s[2:3], s[42:43]
	s_add_co_u32 s38, s38, s42
	s_cselect_b32 s0, -1, 0
	s_delay_alu instid0(SALU_CYCLE_1) | instskip(SKIP_1) | instid1(SALU_CYCLE_1)
	s_cmp_lg_u32 s0, 0
	s_add_co_ci_u32 s39, s39, s43
	s_mul_u64 s[40:41], s[40:41], s[38:39]
	s_delay_alu instid0(SALU_CYCLE_1)
	s_mul_hi_u32 s43, s38, s41
	s_mul_i32 s42, s38, s41
	s_mul_hi_u32 s2, s38, s40
	s_mul_i32 s27, s39, s40
	s_add_nc_u64 s[42:43], s[2:3], s[42:43]
	s_mul_hi_u32 s0, s39, s40
	s_mul_hi_u32 s29, s39, s41
	s_add_co_u32 s2, s42, s27
	s_add_co_ci_u32 s2, s43, s0
	s_mul_i32 s40, s39, s41
	s_add_co_ci_u32 s41, s29, 0
	s_delay_alu instid0(SALU_CYCLE_1) | instskip(NEXT) | instid1(SALU_CYCLE_1)
	s_add_nc_u64 s[40:41], s[2:3], s[40:41]
	s_add_co_u32 s0, s38, s40
	s_cselect_b32 s2, -1, 0
	v_mul_hi_u32 v28, v20, s0
	s_cmp_lg_u32 s2, 0
	s_add_co_ci_u32 s2, s39, s41
	s_and_b64 s[38:39], s[0:1], s[22:23]
	v_mul_u64_e32 v[22:23], s[2:3], v[20:21]
	v_mul_u64_e32 v[18:19], s[38:39], v[24:25]
	;; [unrolled: 1-line block ×3, first 2 shown]
	s_delay_alu instid0(VALU_DEP_3) | instskip(NEXT) | instid1(VALU_DEP_1)
	v_add_nc_u64_e32 v[22:23], v[28:29], v[22:23]
	v_add_co_u32 v3, vcc_lo, v22, v18
	s_delay_alu instid0(VALU_DEP_2) | instskip(NEXT) | instid1(VALU_DEP_4)
	v_add_co_ci_u32_e32 v28, vcc_lo, v23, v19, vcc_lo
	v_add_co_ci_u32_e32 v27, vcc_lo, 0, v27, vcc_lo
	s_delay_alu instid0(VALU_DEP_1) | instskip(NEXT) | instid1(VALU_DEP_1)
	v_add_nc_u64_e32 v[18:19], v[28:29], v[26:27]
	v_mul_u64_e32 v[22:23], s[30:31], v[18:19]
	s_delay_alu instid0(VALU_DEP_1) | instskip(NEXT) | instid1(VALU_DEP_2)
	v_sub_nc_u32_e32 v3, v24, v23
	v_sub_co_u32 v13, vcc_lo, v20, v22
	s_delay_alu instid0(VALU_DEP_1) | instskip(NEXT) | instid1(VALU_DEP_3)
	v_sub_co_ci_u32_e64 v17, null, v24, v23, vcc_lo
	v_subrev_co_ci_u32_e64 v3, null, s31, v3, vcc_lo
	s_delay_alu instid0(VALU_DEP_3) | instskip(SKIP_1) | instid1(VALU_DEP_3)
	v_sub_co_u32 v15, s0, v13, s30
	v_add_nc_u64_e32 v[22:23], 1, v[18:19]
	v_subrev_co_ci_u32_e64 v3, null, 0, v3, s0
	s_delay_alu instid0(VALU_DEP_3) | instskip(SKIP_1) | instid1(VALU_DEP_3)
	v_cmp_le_u32_e32 vcc_lo, s30, v15
	v_cndmask_b32_e64 v15, 0, -1, vcc_lo
	v_cmp_le_u32_e32 vcc_lo, s31, v3
	v_cndmask_b32_e64 v20, 0, -1, vcc_lo
	;; [unrolled: 2-line block ×4, first 2 shown]
	v_cmp_eq_u32_e32 vcc_lo, s31, v3
	v_cndmask_b32_e32 v3, v20, v15, vcc_lo
	v_cmp_eq_u32_e32 vcc_lo, s31, v17
	v_add_nc_u64_e32 v[20:21], 2, v[18:19]
	v_dual_mov_b32 v15, v14 :: v_dual_cndmask_b32 v13, v24, v13, vcc_lo
	s_delay_alu instid0(VALU_DEP_4) | instskip(NEXT) | instid1(VALU_DEP_2)
	v_cmp_ne_u32_e32 vcc_lo, 0, v3
	v_cmp_ne_u32_e64 s0, 0, v13
	s_delay_alu instid0(VALU_DEP_4) | instskip(NEXT) | instid1(VALU_DEP_1)
	v_dual_cndmask_b32 v3, v23, v21, vcc_lo :: v_dual_cndmask_b32 v13, v22, v20, vcc_lo
	v_dual_cndmask_b32 v3, v19, v3, s0 :: v_dual_cndmask_b32 v13, v18, v13, s0
	s_delay_alu instid0(VALU_DEP_1) | instskip(NEXT) | instid1(VALU_DEP_2)
	v_xor_b32_e32 v19, v3, v14
	v_xor_b32_e32 v18, v13, v14
	s_delay_alu instid0(VALU_DEP_1)
	v_sub_nc_u64_e32 v[14:15], v[18:19], v[14:15]
.LBB7_13:                               ;   in Loop: Header=BB7_2 Depth=1
	s_and_not1_saveexec_b32 s0, s25
	s_cbranch_execz .LBB7_15
; %bb.14:                               ;   in Loop: Header=BB7_2 Depth=1
	v_cvt_f32_u32_e32 v3, s10
	s_sub_co_i32 s2, 0, s10
	s_delay_alu instid0(VALU_DEP_1) | instskip(SKIP_1) | instid1(TRANS32_DEP_1)
	v_rcp_iflag_f32_e32 v3, v3
	v_nop
	v_mul_f32_e32 v3, 0x4f7ffffe, v3
	s_delay_alu instid0(VALU_DEP_1) | instskip(NEXT) | instid1(VALU_DEP_1)
	v_cvt_u32_f32_e32 v3, v3
	v_mul_lo_u32 v13, s2, v3
	s_delay_alu instid0(VALU_DEP_1) | instskip(NEXT) | instid1(VALU_DEP_1)
	v_mul_hi_u32 v13, v3, v13
	v_add_nc_u32_e32 v3, v3, v13
	s_delay_alu instid0(VALU_DEP_1) | instskip(NEXT) | instid1(VALU_DEP_1)
	v_mul_hi_u32 v3, v12, v3
	v_mul_lo_u32 v13, v3, s10
	s_delay_alu instid0(VALU_DEP_1) | instskip(NEXT) | instid1(VALU_DEP_1)
	v_dual_add_nc_u32 v14, 1, v3 :: v_dual_sub_nc_u32 v13, v12, v13
	v_subrev_nc_u32_e32 v15, s10, v13
	v_cmp_le_u32_e32 vcc_lo, s10, v13
	s_delay_alu instid0(VALU_DEP_2) | instskip(NEXT) | instid1(VALU_DEP_1)
	v_dual_cndmask_b32 v13, v13, v15, vcc_lo :: v_dual_cndmask_b32 v3, v3, v14, vcc_lo
	v_cmp_le_u32_e32 vcc_lo, s10, v13
	s_delay_alu instid0(VALU_DEP_2) | instskip(NEXT) | instid1(VALU_DEP_1)
	v_add_nc_u32_e32 v14, 1, v3
	v_cndmask_b32_e32 v14, v3, v14, vcc_lo
.LBB7_15:                               ;   in Loop: Header=BB7_2 Depth=1
	s_or_b32 exec_lo, exec_lo, s0
	v_lshl_add_u64 v[10:11], v[10:11], 1, s[6:7]
	v_add_nc_u64_e32 v[0:1], s[18:19], v[0:1]
	v_add_nc_u64_e32 v[6:7], s[20:21], v[6:7]
	s_and_not1_b32 s0, s35, exec_lo
	s_and_not1_b32 s34, s34, exec_lo
	global_load_u16 v3, v[10:11], off
	s_wait_xcnt 0x0
	v_mul_lo_u32 v10, v14, s10
	v_cmp_le_i64_e32 vcc_lo, s[4:5], v[0:1]
	s_and_b32 s2, vcc_lo, exec_lo
	s_delay_alu instid0(VALU_DEP_2) | instskip(SKIP_2) | instid1(VALU_DEP_2)
	v_sub_nc_u32_e32 v10, v12, v10
	v_ashrrev_i32_e32 v12, 31, v14
	s_or_b32 s35, s0, s2
	v_ashrrev_i32_e32 v11, 31, v10
	s_delay_alu instid0(VALU_DEP_1) | instskip(NEXT) | instid1(VALU_DEP_1)
	v_mad_nc_u64_u32 v[10:11], v14, s10, v[10:11]
	v_mad_u32 v11, v12, s10, v11
	s_delay_alu instid0(VALU_DEP_1) | instskip(NEXT) | instid1(VALU_DEP_1)
	v_mad_u32 v11, v14, s11, v11
	v_mul_u64_e32 v[10:11], s[16:17], v[10:11]
	s_delay_alu instid0(VALU_DEP_1) | instskip(NEXT) | instid1(VALU_DEP_1)
	v_lshl_add_u64 v[4:5], v[10:11], 1, v[4:5]
	v_lshl_add_u64 v[8:9], v[8:9], 1, v[4:5]
	s_wait_loadcnt 0x0
	global_store_b16 v[8:9], v3, off
.LBB7_16:                               ;   in Loop: Header=BB7_2 Depth=1
	s_wait_xcnt 0x0
	s_or_b32 exec_lo, exec_lo, s36
	s_delay_alu instid0(SALU_CYCLE_1) | instskip(NEXT) | instid1(SALU_CYCLE_1)
	s_and_b32 s0, exec_lo, s35
	s_or_b32 s1, s0, s1
	s_and_not1_b32 s0, s33, exec_lo
	s_and_b32 s2, s34, exec_lo
	s_delay_alu instid0(SALU_CYCLE_1)
	s_or_b32 s33, s0, s2
	s_and_not1_b32 exec_lo, exec_lo, s1
	s_cbranch_execnz .LBB7_2
; %bb.17:
	s_or_b32 exec_lo, exec_lo, s1
	s_and_saveexec_b32 s0, s33
	s_delay_alu instid0(SALU_CYCLE_1)
	s_xor_b32 s0, exec_lo, s0
	s_cbranch_execnz .LBB7_19
.LBB7_18:
	s_endpgm
.LBB7_19:
	s_trap 2
	; divergent unreachable
	s_endpgm
	.section	.rodata,"a",@progbits
	.p2align	6, 0x0
	.amdhsa_kernel _ZN2at6native30max_unpooling2d_forward_kernelIN3c104HalfEEEvlPKT_PKllllllPS4_
		.amdhsa_group_segment_fixed_size 0
		.amdhsa_private_segment_fixed_size 0
		.amdhsa_kernarg_size 328
		.amdhsa_user_sgpr_count 2
		.amdhsa_user_sgpr_dispatch_ptr 0
		.amdhsa_user_sgpr_queue_ptr 0
		.amdhsa_user_sgpr_kernarg_segment_ptr 1
		.amdhsa_user_sgpr_dispatch_id 0
		.amdhsa_user_sgpr_kernarg_preload_length 0
		.amdhsa_user_sgpr_kernarg_preload_offset 0
		.amdhsa_user_sgpr_private_segment_size 0
		.amdhsa_wavefront_size32 1
		.amdhsa_uses_dynamic_stack 0
		.amdhsa_enable_private_segment 0
		.amdhsa_system_sgpr_workgroup_id_x 1
		.amdhsa_system_sgpr_workgroup_id_y 0
		.amdhsa_system_sgpr_workgroup_id_z 0
		.amdhsa_system_sgpr_workgroup_info 0
		.amdhsa_system_vgpr_workitem_id 0
		.amdhsa_next_free_vgpr 30
		.amdhsa_next_free_sgpr 46
		.amdhsa_named_barrier_count 0
		.amdhsa_reserve_vcc 1
		.amdhsa_float_round_mode_32 0
		.amdhsa_float_round_mode_16_64 0
		.amdhsa_float_denorm_mode_32 3
		.amdhsa_float_denorm_mode_16_64 3
		.amdhsa_fp16_overflow 0
		.amdhsa_memory_ordered 1
		.amdhsa_forward_progress 1
		.amdhsa_inst_pref_size 22
		.amdhsa_round_robin_scheduling 0
		.amdhsa_exception_fp_ieee_invalid_op 0
		.amdhsa_exception_fp_denorm_src 0
		.amdhsa_exception_fp_ieee_div_zero 0
		.amdhsa_exception_fp_ieee_overflow 0
		.amdhsa_exception_fp_ieee_underflow 0
		.amdhsa_exception_fp_ieee_inexact 0
		.amdhsa_exception_int_div_zero 0
	.end_amdhsa_kernel
	.section	.text._ZN2at6native30max_unpooling2d_forward_kernelIN3c104HalfEEEvlPKT_PKllllllPS4_,"axG",@progbits,_ZN2at6native30max_unpooling2d_forward_kernelIN3c104HalfEEEvlPKT_PKllllllPS4_,comdat
.Lfunc_end7:
	.size	_ZN2at6native30max_unpooling2d_forward_kernelIN3c104HalfEEEvlPKT_PKllllllPS4_, .Lfunc_end7-_ZN2at6native30max_unpooling2d_forward_kernelIN3c104HalfEEEvlPKT_PKllllllPS4_
                                        ; -- End function
	.set _ZN2at6native30max_unpooling2d_forward_kernelIN3c104HalfEEEvlPKT_PKllllllPS4_.num_vgpr, 30
	.set _ZN2at6native30max_unpooling2d_forward_kernelIN3c104HalfEEEvlPKT_PKllllllPS4_.num_agpr, 0
	.set _ZN2at6native30max_unpooling2d_forward_kernelIN3c104HalfEEEvlPKT_PKllllllPS4_.numbered_sgpr, 46
	.set _ZN2at6native30max_unpooling2d_forward_kernelIN3c104HalfEEEvlPKT_PKllllllPS4_.num_named_barrier, 0
	.set _ZN2at6native30max_unpooling2d_forward_kernelIN3c104HalfEEEvlPKT_PKllllllPS4_.private_seg_size, 0
	.set _ZN2at6native30max_unpooling2d_forward_kernelIN3c104HalfEEEvlPKT_PKllllllPS4_.uses_vcc, 1
	.set _ZN2at6native30max_unpooling2d_forward_kernelIN3c104HalfEEEvlPKT_PKllllllPS4_.uses_flat_scratch, 0
	.set _ZN2at6native30max_unpooling2d_forward_kernelIN3c104HalfEEEvlPKT_PKllllllPS4_.has_dyn_sized_stack, 0
	.set _ZN2at6native30max_unpooling2d_forward_kernelIN3c104HalfEEEvlPKT_PKllllllPS4_.has_recursion, 0
	.set _ZN2at6native30max_unpooling2d_forward_kernelIN3c104HalfEEEvlPKT_PKllllllPS4_.has_indirect_call, 0
	.section	.AMDGPU.csdata,"",@progbits
; Kernel info:
; codeLenInByte = 2696
; TotalNumSgprs: 48
; NumVgprs: 30
; ScratchSize: 0
; MemoryBound: 0
; FloatMode: 240
; IeeeMode: 1
; LDSByteSize: 0 bytes/workgroup (compile time only)
; SGPRBlocks: 0
; VGPRBlocks: 1
; NumSGPRsForWavesPerEU: 48
; NumVGPRsForWavesPerEU: 30
; NamedBarCnt: 0
; Occupancy: 16
; WaveLimiterHint : 1
; COMPUTE_PGM_RSRC2:SCRATCH_EN: 0
; COMPUTE_PGM_RSRC2:USER_SGPR: 2
; COMPUTE_PGM_RSRC2:TRAP_HANDLER: 0
; COMPUTE_PGM_RSRC2:TGID_X_EN: 1
; COMPUTE_PGM_RSRC2:TGID_Y_EN: 0
; COMPUTE_PGM_RSRC2:TGID_Z_EN: 0
; COMPUTE_PGM_RSRC2:TIDIG_COMP_CNT: 0
	.section	.text._ZN2at6native30max_unpooling2d_forward_kernelIN3c108BFloat16EEEvlPKT_PKllllllPS4_,"axG",@progbits,_ZN2at6native30max_unpooling2d_forward_kernelIN3c108BFloat16EEEvlPKT_PKllllllPS4_,comdat
	.protected	_ZN2at6native30max_unpooling2d_forward_kernelIN3c108BFloat16EEEvlPKT_PKllllllPS4_ ; -- Begin function _ZN2at6native30max_unpooling2d_forward_kernelIN3c108BFloat16EEEvlPKT_PKllllllPS4_
	.globl	_ZN2at6native30max_unpooling2d_forward_kernelIN3c108BFloat16EEEvlPKT_PKllllllPS4_
	.p2align	8
	.type	_ZN2at6native30max_unpooling2d_forward_kernelIN3c108BFloat16EEEvlPKT_PKllllllPS4_,@function
_ZN2at6native30max_unpooling2d_forward_kernelIN3c108BFloat16EEEvlPKT_PKllllllPS4_: ; @_ZN2at6native30max_unpooling2d_forward_kernelIN3c108BFloat16EEEvlPKT_PKllllllPS4_
; %bb.0:
	s_load_b32 s2, s[0:1], 0x54
	s_bfe_u32 s4, ttmp6, 0x4000c
	v_mov_b32_e32 v2, 0
	s_add_co_i32 s21, s4, 1
	s_load_b512 s[4:19], s[0:1], 0x0
	s_and_b32 s3, ttmp6, 15
	s_mul_i32 s21, ttmp9, s21
	s_getreg_b32 s20, hwreg(HW_REG_IB_STS2, 6, 4)
	v_mov_b32_e32 v1, v2
	s_add_co_i32 s3, s3, s21
	s_wait_kmcnt 0x0
	s_and_b32 s2, s2, 0xffff
	s_cmp_eq_u32 s20, 0
	s_mov_b32 s20, exec_lo
	s_cselect_b32 s3, ttmp9, s3
	s_delay_alu instid0(SALU_CYCLE_1) | instskip(SKIP_1) | instid1(VALU_DEP_1)
	v_mad_nc_u64_u32 v[0:1], s2, s3, v[0:1]
	s_mov_b32 s3, 0
	v_cmpx_gt_i64_e64 s[4:5], v[0:1]
	s_cbranch_execz .LBB8_18
; %bb.1:
	v_cvt_f32_u32_e32 v3, s14
	s_sub_co_i32 s22, 0, s14
	s_add_nc_u64 s[20:21], s[0:1], 0x48
	s_load_b64 s[0:1], s[0:1], 0x40
	s_mul_u64 s[16:17], s[18:19], s[16:17]
	v_rcp_iflag_f32_e32 v3, v3
	s_load_b32 s21, s[20:21], 0x0
	s_mov_b32 s19, s3
	s_wait_xcnt 0x0
	s_mov_b32 s20, s3
	s_ashr_i32 s24, s15, 31
	s_ashr_i32 s26, s13, 31
                                        ; implicit-def: $sgpr33
                                        ; implicit-def: $sgpr35
                                        ; implicit-def: $sgpr34
	v_nop
	v_mul_f32_e32 v3, 0x4f7ffffe, v3
	s_delay_alu instid0(VALU_DEP_1) | instskip(NEXT) | instid1(VALU_DEP_1)
	v_cvt_u32_f32_e32 v6, v3
	v_mul_lo_u32 v3, s22, v6
	s_wait_kmcnt 0x0
	v_mov_b64_e32 v[4:5], s[0:1]
	s_mov_b64 s[22:23], 0xffffffff
	s_mov_b32 s1, 0
	s_mul_i32 s18, s21, s2
	s_delay_alu instid0(SALU_CYCLE_1) | instskip(NEXT) | instid1(VALU_DEP_2)
	s_mov_b32 s21, s18
	v_mul_hi_u32 v7, v6, v3
	s_delay_alu instid0(VALU_DEP_1) | instskip(NEXT) | instid1(VALU_DEP_1)
	v_dual_mov_b32 v3, v0 :: v_dual_add_nc_u32 v16, v6, v7
	v_mov_b64_e32 v[6:7], v[2:3]
.LBB8_2:                                ; =>This Inner Loop Header: Depth=1
	s_delay_alu instid0(VALU_DEP_1) | instskip(SKIP_2) | instid1(VALU_DEP_1)
	v_ashrrev_i64 v[8:9], 29, v[6:7]
	s_or_b32 s34, s34, exec_lo
	s_or_b32 s35, s35, exec_lo
	v_add_nc_u64_e32 v[8:9], s[8:9], v[8:9]
	global_load_b64 v[8:9], v[8:9], off
	s_wait_loadcnt 0x0
	s_wait_xcnt 0x0
	v_ashrrev_i32_e32 v9, 31, v8
	v_cmp_lt_i32_e64 s0, -1, v8
	s_delay_alu instid0(VALU_DEP_2) | instskip(SKIP_1) | instid1(SALU_CYCLE_1)
	v_cmp_gt_i64_e32 vcc_lo, s[16:17], v[8:9]
	s_and_b32 s0, s0, vcc_lo
	s_and_saveexec_b32 s36, s0
	s_cbranch_execz .LBB8_16
; %bb.3:                                ;   in Loop: Header=BB8_2 Depth=1
	v_dual_mov_b32 v10, v7 :: v_dual_ashrrev_i32 v11, 31, v7
                                        ; implicit-def: $vgpr14_vgpr15
	s_mov_b32 s0, exec_lo
	s_delay_alu instid0(VALU_DEP_1) | instskip(NEXT) | instid1(VALU_DEP_1)
	v_or_b32_e32 v3, s15, v11
	v_cmpx_ne_u64_e32 0, v[2:3]
	s_xor_b32 s27, exec_lo, s0
	s_cbranch_execz .LBB8_5
; %bb.4:                                ;   in Loop: Header=BB8_2 Depth=1
	s_mov_b32 s25, s24
	v_dual_mov_b32 v19, v2 :: v_dual_ashrrev_i32 v12, 31, v11
	s_add_nc_u64 s[28:29], s[14:15], s[24:25]
	v_mov_b32_e32 v27, v2
	s_xor_b64 s[28:29], s[28:29], s[24:25]
	s_delay_alu instid0(VALU_DEP_2) | instskip(SKIP_3) | instid1(VALU_DEP_1)
	v_mov_b32_e32 v13, v12
	s_cvt_f32_u32 s0, s28
	s_cvt_f32_u32 s2, s29
	s_sub_nc_u64 s[38:39], 0, s[28:29]
	v_add_nc_u64_e32 v[14:15], v[10:11], v[12:13]
	s_delay_alu instid0(SALU_CYCLE_1) | instskip(SKIP_1) | instid1(SALU_CYCLE_2)
	s_fmamk_f32 s0, s2, 0x4f800000, s0
	v_mov_b32_e32 v23, v2
	v_s_rcp_f32 s0, s0
	s_delay_alu instid0(VALU_DEP_2) | instskip(NEXT) | instid1(VALU_DEP_3)
	v_xor_b32_e32 v18, v14, v12
	v_xor_b32_e32 v22, v15, v12
	;; [unrolled: 1-line block ×3, first 2 shown]
	s_delay_alu instid0(TRANS32_DEP_1) | instskip(NEXT) | instid1(SALU_CYCLE_3)
	s_mul_f32 s0, s0, 0x5f7ffffc
	s_mul_f32 s2, s0, 0x2f800000
	s_delay_alu instid0(SALU_CYCLE_3) | instskip(NEXT) | instid1(SALU_CYCLE_3)
	s_trunc_f32 s2, s2
	s_fmamk_f32 s0, s2, 0xcf800000, s0
	s_cvt_u32_f32 s31, s2
	s_delay_alu instid0(SALU_CYCLE_2) | instskip(NEXT) | instid1(SALU_CYCLE_3)
	s_cvt_u32_f32 s30, s0
	s_mul_u64 s[40:41], s[38:39], s[30:31]
	s_delay_alu instid0(SALU_CYCLE_1)
	s_mul_hi_u32 s43, s30, s41
	s_mul_i32 s42, s30, s41
	s_mul_hi_u32 s2, s30, s40
	s_mul_i32 s25, s31, s40
	s_add_nc_u64 s[42:43], s[2:3], s[42:43]
	s_mul_hi_u32 s0, s31, s40
	s_mul_hi_u32 s37, s31, s41
	s_add_co_u32 s2, s42, s25
	s_add_co_ci_u32 s2, s43, s0
	s_mul_i32 s40, s31, s41
	s_add_co_ci_u32 s41, s37, 0
	s_delay_alu instid0(SALU_CYCLE_1) | instskip(NEXT) | instid1(SALU_CYCLE_1)
	s_add_nc_u64 s[40:41], s[2:3], s[40:41]
	s_add_co_u32 s30, s30, s40
	s_cselect_b32 s0, -1, 0
	s_delay_alu instid0(SALU_CYCLE_1) | instskip(SKIP_1) | instid1(SALU_CYCLE_1)
	s_cmp_lg_u32 s0, 0
	s_add_co_ci_u32 s31, s31, s41
	s_mul_u64 s[38:39], s[38:39], s[30:31]
	s_delay_alu instid0(SALU_CYCLE_1)
	s_mul_hi_u32 s41, s30, s39
	s_mul_i32 s40, s30, s39
	s_mul_hi_u32 s2, s30, s38
	s_mul_i32 s25, s31, s38
	s_add_nc_u64 s[40:41], s[2:3], s[40:41]
	s_mul_hi_u32 s0, s31, s38
	s_mul_hi_u32 s37, s31, s39
	s_add_co_u32 s2, s40, s25
	s_add_co_ci_u32 s2, s41, s0
	s_mul_i32 s38, s31, s39
	s_add_co_ci_u32 s39, s37, 0
	s_delay_alu instid0(SALU_CYCLE_1) | instskip(NEXT) | instid1(SALU_CYCLE_1)
	s_add_nc_u64 s[38:39], s[2:3], s[38:39]
	s_add_co_u32 s0, s30, s38
	s_cselect_b32 s2, -1, 0
	v_mul_hi_u32 v26, v18, s0
	s_cmp_lg_u32 s2, 0
	s_add_co_ci_u32 s2, s31, s39
	s_and_b64 s[30:31], s[0:1], s[22:23]
	v_mul_u64_e32 v[20:21], s[2:3], v[18:19]
	v_mul_u64_e32 v[14:15], s[30:31], v[22:23]
	;; [unrolled: 1-line block ×3, first 2 shown]
	s_delay_alu instid0(VALU_DEP_3) | instskip(NEXT) | instid1(VALU_DEP_1)
	v_add_nc_u64_e32 v[20:21], v[26:27], v[20:21]
	v_add_co_u32 v3, vcc_lo, v20, v14
	s_delay_alu instid0(VALU_DEP_2) | instskip(NEXT) | instid1(VALU_DEP_4)
	v_add_co_ci_u32_e32 v26, vcc_lo, v21, v15, vcc_lo
	v_add_co_ci_u32_e32 v25, vcc_lo, 0, v25, vcc_lo
	s_delay_alu instid0(VALU_DEP_1) | instskip(NEXT) | instid1(VALU_DEP_1)
	v_add_nc_u64_e32 v[14:15], v[26:27], v[24:25]
	v_mul_u64_e32 v[20:21], s[28:29], v[14:15]
	s_delay_alu instid0(VALU_DEP_1) | instskip(NEXT) | instid1(VALU_DEP_2)
	v_sub_nc_u32_e32 v3, v22, v21
	v_sub_co_u32 v13, vcc_lo, v18, v20
	s_delay_alu instid0(VALU_DEP_1) | instskip(NEXT) | instid1(VALU_DEP_3)
	v_sub_co_ci_u32_e64 v22, null, v22, v21, vcc_lo
	v_subrev_co_ci_u32_e64 v3, null, s29, v3, vcc_lo
	s_delay_alu instid0(VALU_DEP_3) | instskip(SKIP_1) | instid1(VALU_DEP_3)
	v_sub_co_u32 v17, s0, v13, s28
	v_add_nc_u64_e32 v[20:21], 1, v[14:15]
	v_subrev_co_ci_u32_e64 v3, null, 0, v3, s0
	s_delay_alu instid0(VALU_DEP_3) | instskip(SKIP_1) | instid1(VALU_DEP_3)
	v_cmp_le_u32_e32 vcc_lo, s28, v17
	v_cndmask_b32_e64 v17, 0, -1, vcc_lo
	v_cmp_le_u32_e32 vcc_lo, s29, v3
	v_cndmask_b32_e64 v18, 0, -1, vcc_lo
	v_cmp_le_u32_e32 vcc_lo, s28, v13
	v_cndmask_b32_e64 v13, 0, -1, vcc_lo
	v_cmp_le_u32_e32 vcc_lo, s29, v22
	v_cndmask_b32_e64 v23, 0, -1, vcc_lo
	v_cmp_eq_u32_e32 vcc_lo, s29, v3
	v_cndmask_b32_e32 v3, v18, v17, vcc_lo
	v_cmp_eq_u32_e32 vcc_lo, s29, v22
	v_add_nc_u64_e32 v[18:19], 2, v[14:15]
	v_cndmask_b32_e32 v13, v23, v13, vcc_lo
	s_delay_alu instid0(VALU_DEP_4) | instskip(NEXT) | instid1(VALU_DEP_2)
	v_cmp_ne_u32_e32 vcc_lo, 0, v3
	v_cmp_ne_u32_e64 s0, 0, v13
	s_delay_alu instid0(VALU_DEP_4) | instskip(NEXT) | instid1(VALU_DEP_1)
	v_dual_cndmask_b32 v13, v20, v18, vcc_lo :: v_dual_cndmask_b32 v3, v21, v19, vcc_lo
	v_dual_cndmask_b32 v14, v14, v13, s0 :: v_dual_cndmask_b32 v3, v15, v3, s0
	s_delay_alu instid0(VALU_DEP_1) | instskip(NEXT) | instid1(VALU_DEP_2)
	v_dual_mov_b32 v13, v12 :: v_dual_bitop2_b32 v14, v14, v12 bitop3:0x14
	v_xor_b32_e32 v15, v3, v12
	s_delay_alu instid0(VALU_DEP_1)
	v_sub_nc_u64_e32 v[14:15], v[14:15], v[12:13]
.LBB8_5:                                ;   in Loop: Header=BB8_2 Depth=1
	s_and_not1_saveexec_b32 s0, s27
	s_cbranch_execz .LBB8_7
; %bb.6:                                ;   in Loop: Header=BB8_2 Depth=1
	v_mul_hi_u32 v3, v7, v16
	v_mov_b32_e32 v15, v2
	s_delay_alu instid0(VALU_DEP_2) | instskip(NEXT) | instid1(VALU_DEP_1)
	v_mul_lo_u32 v12, v3, s14
	v_dual_add_nc_u32 v13, 1, v3 :: v_dual_sub_nc_u32 v12, v7, v12
	s_delay_alu instid0(VALU_DEP_1) | instskip(SKIP_1) | instid1(VALU_DEP_2)
	v_subrev_nc_u32_e32 v14, s14, v12
	v_cmp_le_u32_e32 vcc_lo, s14, v12
	v_dual_cndmask_b32 v12, v12, v14 :: v_dual_cndmask_b32 v3, v3, v13
	s_delay_alu instid0(VALU_DEP_1) | instskip(NEXT) | instid1(VALU_DEP_2)
	v_cmp_le_u32_e32 vcc_lo, s14, v12
	v_add_nc_u32_e32 v13, 1, v3
	s_delay_alu instid0(VALU_DEP_1)
	v_cndmask_b32_e32 v14, v3, v13, vcc_lo
.LBB8_7:                                ;   in Loop: Header=BB8_2 Depth=1
	s_or_b32 exec_lo, exec_lo, s0
	s_delay_alu instid0(VALU_DEP_1) | instskip(SKIP_1) | instid1(VALU_DEP_1)
	v_or_b32_e32 v3, s13, v15
                                        ; implicit-def: $vgpr12_vgpr13
	s_mov_b32 s0, exec_lo
	v_cmpx_ne_u64_e32 0, v[2:3]
	s_xor_b32 s25, exec_lo, s0
	s_cbranch_execz .LBB8_9
; %bb.8:                                ;   in Loop: Header=BB8_2 Depth=1
	s_mov_b32 s27, s26
	v_dual_mov_b32 v19, v2 :: v_dual_ashrrev_i32 v12, 31, v15
	s_add_nc_u64 s[28:29], s[12:13], s[26:27]
	v_mov_b32_e32 v27, v2
	s_xor_b64 s[28:29], s[28:29], s[26:27]
	s_delay_alu instid0(VALU_DEP_2) | instskip(SKIP_3) | instid1(VALU_DEP_1)
	v_mov_b32_e32 v13, v12
	s_cvt_f32_u32 s0, s28
	s_cvt_f32_u32 s2, s29
	s_sub_nc_u64 s[38:39], 0, s[28:29]
	v_add_nc_u64_e32 v[14:15], v[14:15], v[12:13]
	s_delay_alu instid0(SALU_CYCLE_1) | instskip(SKIP_1) | instid1(SALU_CYCLE_2)
	s_fmamk_f32 s0, s2, 0x4f800000, s0
	v_mov_b32_e32 v23, v2
	v_s_rcp_f32 s0, s0
	s_delay_alu instid0(VALU_DEP_2) | instskip(NEXT) | instid1(VALU_DEP_3)
	v_xor_b32_e32 v18, v14, v12
	v_xor_b32_e32 v22, v15, v12
	;; [unrolled: 1-line block ×3, first 2 shown]
	s_delay_alu instid0(TRANS32_DEP_1) | instskip(NEXT) | instid1(SALU_CYCLE_3)
	s_mul_f32 s0, s0, 0x5f7ffffc
	s_mul_f32 s2, s0, 0x2f800000
	s_delay_alu instid0(SALU_CYCLE_3) | instskip(NEXT) | instid1(SALU_CYCLE_3)
	s_trunc_f32 s2, s2
	s_fmamk_f32 s0, s2, 0xcf800000, s0
	s_cvt_u32_f32 s31, s2
	s_delay_alu instid0(SALU_CYCLE_2) | instskip(NEXT) | instid1(SALU_CYCLE_3)
	s_cvt_u32_f32 s30, s0
	s_mul_u64 s[40:41], s[38:39], s[30:31]
	s_delay_alu instid0(SALU_CYCLE_1)
	s_mul_hi_u32 s43, s30, s41
	s_mul_i32 s42, s30, s41
	s_mul_hi_u32 s2, s30, s40
	s_mul_i32 s27, s31, s40
	s_add_nc_u64 s[42:43], s[2:3], s[42:43]
	s_mul_hi_u32 s0, s31, s40
	s_mul_hi_u32 s37, s31, s41
	s_add_co_u32 s2, s42, s27
	s_add_co_ci_u32 s2, s43, s0
	s_mul_i32 s40, s31, s41
	s_add_co_ci_u32 s41, s37, 0
	s_delay_alu instid0(SALU_CYCLE_1) | instskip(NEXT) | instid1(SALU_CYCLE_1)
	s_add_nc_u64 s[40:41], s[2:3], s[40:41]
	s_add_co_u32 s30, s30, s40
	s_cselect_b32 s0, -1, 0
	s_delay_alu instid0(SALU_CYCLE_1) | instskip(SKIP_1) | instid1(SALU_CYCLE_1)
	s_cmp_lg_u32 s0, 0
	s_add_co_ci_u32 s31, s31, s41
	s_mul_u64 s[38:39], s[38:39], s[30:31]
	s_delay_alu instid0(SALU_CYCLE_1)
	s_mul_hi_u32 s41, s30, s39
	s_mul_i32 s40, s30, s39
	s_mul_hi_u32 s2, s30, s38
	s_mul_i32 s27, s31, s38
	s_add_nc_u64 s[40:41], s[2:3], s[40:41]
	s_mul_hi_u32 s0, s31, s38
	s_mul_hi_u32 s37, s31, s39
	s_add_co_u32 s2, s40, s27
	s_add_co_ci_u32 s2, s41, s0
	s_mul_i32 s38, s31, s39
	s_add_co_ci_u32 s39, s37, 0
	s_delay_alu instid0(SALU_CYCLE_1) | instskip(NEXT) | instid1(SALU_CYCLE_1)
	s_add_nc_u64 s[38:39], s[2:3], s[38:39]
	s_add_co_u32 s0, s30, s38
	s_cselect_b32 s2, -1, 0
	v_mul_hi_u32 v26, v18, s0
	s_cmp_lg_u32 s2, 0
	s_add_co_ci_u32 s2, s31, s39
	s_and_b64 s[30:31], s[0:1], s[22:23]
	v_mul_u64_e32 v[20:21], s[2:3], v[18:19]
	v_mul_u64_e32 v[14:15], s[30:31], v[22:23]
	;; [unrolled: 1-line block ×3, first 2 shown]
	s_delay_alu instid0(VALU_DEP_3) | instskip(NEXT) | instid1(VALU_DEP_1)
	v_add_nc_u64_e32 v[20:21], v[26:27], v[20:21]
	v_add_co_u32 v3, vcc_lo, v20, v14
	s_delay_alu instid0(VALU_DEP_2) | instskip(NEXT) | instid1(VALU_DEP_4)
	v_add_co_ci_u32_e32 v26, vcc_lo, v21, v15, vcc_lo
	v_add_co_ci_u32_e32 v25, vcc_lo, 0, v25, vcc_lo
	s_delay_alu instid0(VALU_DEP_1) | instskip(NEXT) | instid1(VALU_DEP_1)
	v_add_nc_u64_e32 v[14:15], v[26:27], v[24:25]
	v_mul_u64_e32 v[20:21], s[28:29], v[14:15]
	s_delay_alu instid0(VALU_DEP_1) | instskip(NEXT) | instid1(VALU_DEP_2)
	v_sub_nc_u32_e32 v3, v22, v21
	v_sub_co_u32 v13, vcc_lo, v18, v20
	s_delay_alu instid0(VALU_DEP_1) | instskip(NEXT) | instid1(VALU_DEP_3)
	v_sub_co_ci_u32_e64 v22, null, v22, v21, vcc_lo
	v_subrev_co_ci_u32_e64 v3, null, s29, v3, vcc_lo
	s_delay_alu instid0(VALU_DEP_3) | instskip(SKIP_1) | instid1(VALU_DEP_3)
	v_sub_co_u32 v17, s0, v13, s28
	v_add_nc_u64_e32 v[20:21], 1, v[14:15]
	v_subrev_co_ci_u32_e64 v3, null, 0, v3, s0
	s_delay_alu instid0(VALU_DEP_3) | instskip(SKIP_1) | instid1(VALU_DEP_3)
	v_cmp_le_u32_e32 vcc_lo, s28, v17
	v_cndmask_b32_e64 v17, 0, -1, vcc_lo
	v_cmp_le_u32_e32 vcc_lo, s29, v3
	v_cndmask_b32_e64 v18, 0, -1, vcc_lo
	v_cmp_le_u32_e32 vcc_lo, s28, v13
	v_cndmask_b32_e64 v13, 0, -1, vcc_lo
	v_cmp_le_u32_e32 vcc_lo, s29, v22
	v_cndmask_b32_e64 v23, 0, -1, vcc_lo
	v_cmp_eq_u32_e32 vcc_lo, s29, v3
	v_cndmask_b32_e32 v3, v18, v17, vcc_lo
	v_cmp_eq_u32_e32 vcc_lo, s29, v22
	v_add_nc_u64_e32 v[18:19], 2, v[14:15]
	v_cndmask_b32_e32 v13, v23, v13, vcc_lo
	s_delay_alu instid0(VALU_DEP_4) | instskip(NEXT) | instid1(VALU_DEP_2)
	v_cmp_ne_u32_e32 vcc_lo, 0, v3
	v_cmp_ne_u32_e64 s0, 0, v13
	s_delay_alu instid0(VALU_DEP_4) | instskip(NEXT) | instid1(VALU_DEP_1)
	v_dual_cndmask_b32 v13, v20, v18, vcc_lo :: v_dual_cndmask_b32 v3, v21, v19, vcc_lo
	v_dual_cndmask_b32 v14, v14, v13, s0 :: v_dual_cndmask_b32 v3, v15, v3, s0
	s_delay_alu instid0(VALU_DEP_1) | instskip(NEXT) | instid1(VALU_DEP_2)
	v_dual_mov_b32 v13, v12 :: v_dual_bitop2_b32 v14, v14, v12 bitop3:0x14
	v_xor_b32_e32 v15, v3, v12
	s_delay_alu instid0(VALU_DEP_1)
	v_sub_nc_u64_e32 v[12:13], v[14:15], v[12:13]
                                        ; implicit-def: $vgpr14_vgpr15
.LBB8_9:                                ;   in Loop: Header=BB8_2 Depth=1
	s_and_not1_saveexec_b32 s0, s25
	s_cbranch_execz .LBB8_11
; %bb.10:                               ;   in Loop: Header=BB8_2 Depth=1
	v_cvt_f32_u32_e32 v3, s12
	s_sub_co_i32 s2, 0, s12
	s_delay_alu instid0(VALU_DEP_1) | instskip(SKIP_1) | instid1(TRANS32_DEP_1)
	v_rcp_iflag_f32_e32 v3, v3
	v_nop
	v_mul_f32_e32 v3, 0x4f7ffffe, v3
	s_delay_alu instid0(VALU_DEP_1) | instskip(NEXT) | instid1(VALU_DEP_1)
	v_cvt_u32_f32_e32 v3, v3
	v_mul_lo_u32 v12, s2, v3
	s_delay_alu instid0(VALU_DEP_1) | instskip(NEXT) | instid1(VALU_DEP_1)
	v_mul_hi_u32 v12, v3, v12
	v_add_nc_u32_e32 v3, v3, v12
	s_delay_alu instid0(VALU_DEP_1) | instskip(NEXT) | instid1(VALU_DEP_1)
	v_mul_hi_u32 v3, v14, v3
	v_mul_lo_u32 v12, v3, s12
	s_delay_alu instid0(VALU_DEP_1) | instskip(NEXT) | instid1(VALU_DEP_1)
	v_dual_add_nc_u32 v13, 1, v3 :: v_dual_sub_nc_u32 v12, v14, v12
	v_subrev_nc_u32_e32 v14, s12, v12
	v_cmp_le_u32_e32 vcc_lo, s12, v12
	s_delay_alu instid0(VALU_DEP_2) | instskip(NEXT) | instid1(VALU_DEP_1)
	v_dual_cndmask_b32 v12, v12, v14 :: v_dual_cndmask_b32 v3, v3, v13
	v_cmp_le_u32_e32 vcc_lo, s12, v12
	s_delay_alu instid0(VALU_DEP_2) | instskip(NEXT) | instid1(VALU_DEP_1)
	v_add_nc_u32_e32 v13, 1, v3
	v_dual_cndmask_b32 v12, v3, v13 :: v_dual_mov_b32 v13, v2
.LBB8_11:                               ;   in Loop: Header=BB8_2 Depth=1
	s_or_b32 exec_lo, exec_lo, s0
	s_delay_alu instid0(VALU_DEP_1) | instskip(SKIP_1) | instid1(VALU_DEP_1)
	v_or_b32_e32 v3, s11, v13
                                        ; implicit-def: $vgpr14_vgpr15
	s_mov_b32 s0, exec_lo
	v_cmpx_ne_u64_e32 0, v[2:3]
	s_xor_b32 s25, exec_lo, s0
	s_cbranch_execz .LBB8_13
; %bb.12:                               ;   in Loop: Header=BB8_2 Depth=1
	s_ashr_i32 s28, s11, 31
	v_dual_mov_b32 v21, v2 :: v_dual_ashrrev_i32 v14, 31, v13
	s_mov_b32 s29, s28
	v_mov_b32_e32 v25, v2
	s_add_nc_u64 s[30:31], s[10:11], s[28:29]
	s_delay_alu instid0(VALU_DEP_2)
	v_mov_b32_e32 v15, v14
	s_xor_b64 s[30:31], s[30:31], s[28:29]
	v_mov_b32_e32 v29, v2
	s_cvt_f32_u32 s0, s30
	s_cvt_f32_u32 s2, s31
	s_sub_nc_u64 s[40:41], 0, s[30:31]
	v_add_nc_u64_e32 v[18:19], v[12:13], v[14:15]
	s_delay_alu instid0(SALU_CYCLE_1) | instskip(NEXT) | instid1(SALU_CYCLE_3)
	s_fmamk_f32 s0, s2, 0x4f800000, s0
	v_s_rcp_f32 s0, s0
	s_delay_alu instid0(VALU_DEP_1) | instskip(NEXT) | instid1(VALU_DEP_2)
	v_xor_b32_e32 v24, v19, v14
	v_xor_b32_e32 v20, v18, v14
	v_xor_b32_e32 v14, s28, v14
	s_delay_alu instid0(TRANS32_DEP_1) | instskip(NEXT) | instid1(SALU_CYCLE_3)
	s_mul_f32 s0, s0, 0x5f7ffffc
	s_mul_f32 s2, s0, 0x2f800000
	s_delay_alu instid0(SALU_CYCLE_3) | instskip(NEXT) | instid1(SALU_CYCLE_3)
	s_trunc_f32 s2, s2
	s_fmamk_f32 s0, s2, 0xcf800000, s0
	s_cvt_u32_f32 s39, s2
	s_delay_alu instid0(SALU_CYCLE_2) | instskip(NEXT) | instid1(SALU_CYCLE_3)
	s_cvt_u32_f32 s38, s0
	s_mul_u64 s[42:43], s[40:41], s[38:39]
	s_delay_alu instid0(SALU_CYCLE_1)
	s_mul_hi_u32 s45, s38, s43
	s_mul_i32 s44, s38, s43
	s_mul_hi_u32 s2, s38, s42
	s_mul_i32 s27, s39, s42
	s_add_nc_u64 s[44:45], s[2:3], s[44:45]
	s_mul_hi_u32 s0, s39, s42
	s_mul_hi_u32 s29, s39, s43
	s_add_co_u32 s2, s44, s27
	s_add_co_ci_u32 s2, s45, s0
	s_mul_i32 s42, s39, s43
	s_add_co_ci_u32 s43, s29, 0
	s_delay_alu instid0(SALU_CYCLE_1) | instskip(NEXT) | instid1(SALU_CYCLE_1)
	s_add_nc_u64 s[42:43], s[2:3], s[42:43]
	s_add_co_u32 s38, s38, s42
	s_cselect_b32 s0, -1, 0
	s_delay_alu instid0(SALU_CYCLE_1) | instskip(SKIP_1) | instid1(SALU_CYCLE_1)
	s_cmp_lg_u32 s0, 0
	s_add_co_ci_u32 s39, s39, s43
	s_mul_u64 s[40:41], s[40:41], s[38:39]
	s_delay_alu instid0(SALU_CYCLE_1)
	s_mul_hi_u32 s43, s38, s41
	s_mul_i32 s42, s38, s41
	s_mul_hi_u32 s2, s38, s40
	s_mul_i32 s27, s39, s40
	s_add_nc_u64 s[42:43], s[2:3], s[42:43]
	s_mul_hi_u32 s0, s39, s40
	s_mul_hi_u32 s29, s39, s41
	s_add_co_u32 s2, s42, s27
	s_add_co_ci_u32 s2, s43, s0
	s_mul_i32 s40, s39, s41
	s_add_co_ci_u32 s41, s29, 0
	s_delay_alu instid0(SALU_CYCLE_1) | instskip(NEXT) | instid1(SALU_CYCLE_1)
	s_add_nc_u64 s[40:41], s[2:3], s[40:41]
	s_add_co_u32 s0, s38, s40
	s_cselect_b32 s2, -1, 0
	v_mul_hi_u32 v28, v20, s0
	s_cmp_lg_u32 s2, 0
	s_add_co_ci_u32 s2, s39, s41
	s_and_b64 s[38:39], s[0:1], s[22:23]
	v_mul_u64_e32 v[22:23], s[2:3], v[20:21]
	v_mul_u64_e32 v[18:19], s[38:39], v[24:25]
	;; [unrolled: 1-line block ×3, first 2 shown]
	s_delay_alu instid0(VALU_DEP_3) | instskip(NEXT) | instid1(VALU_DEP_1)
	v_add_nc_u64_e32 v[22:23], v[28:29], v[22:23]
	v_add_co_u32 v3, vcc_lo, v22, v18
	s_delay_alu instid0(VALU_DEP_2) | instskip(NEXT) | instid1(VALU_DEP_4)
	v_add_co_ci_u32_e32 v28, vcc_lo, v23, v19, vcc_lo
	v_add_co_ci_u32_e32 v27, vcc_lo, 0, v27, vcc_lo
	s_delay_alu instid0(VALU_DEP_1) | instskip(NEXT) | instid1(VALU_DEP_1)
	v_add_nc_u64_e32 v[18:19], v[28:29], v[26:27]
	v_mul_u64_e32 v[22:23], s[30:31], v[18:19]
	s_delay_alu instid0(VALU_DEP_1) | instskip(NEXT) | instid1(VALU_DEP_2)
	v_sub_nc_u32_e32 v3, v24, v23
	v_sub_co_u32 v13, vcc_lo, v20, v22
	s_delay_alu instid0(VALU_DEP_1) | instskip(NEXT) | instid1(VALU_DEP_3)
	v_sub_co_ci_u32_e64 v17, null, v24, v23, vcc_lo
	v_subrev_co_ci_u32_e64 v3, null, s31, v3, vcc_lo
	s_delay_alu instid0(VALU_DEP_3) | instskip(SKIP_1) | instid1(VALU_DEP_3)
	v_sub_co_u32 v15, s0, v13, s30
	v_add_nc_u64_e32 v[22:23], 1, v[18:19]
	v_subrev_co_ci_u32_e64 v3, null, 0, v3, s0
	s_delay_alu instid0(VALU_DEP_3) | instskip(SKIP_1) | instid1(VALU_DEP_3)
	v_cmp_le_u32_e32 vcc_lo, s30, v15
	v_cndmask_b32_e64 v15, 0, -1, vcc_lo
	v_cmp_le_u32_e32 vcc_lo, s31, v3
	v_cndmask_b32_e64 v20, 0, -1, vcc_lo
	;; [unrolled: 2-line block ×4, first 2 shown]
	v_cmp_eq_u32_e32 vcc_lo, s31, v3
	v_cndmask_b32_e32 v3, v20, v15, vcc_lo
	v_cmp_eq_u32_e32 vcc_lo, s31, v17
	v_add_nc_u64_e32 v[20:21], 2, v[18:19]
	v_dual_mov_b32 v15, v14 :: v_dual_cndmask_b32 v13, v24, v13, vcc_lo
	s_delay_alu instid0(VALU_DEP_4) | instskip(NEXT) | instid1(VALU_DEP_2)
	v_cmp_ne_u32_e32 vcc_lo, 0, v3
	v_cmp_ne_u32_e64 s0, 0, v13
	s_delay_alu instid0(VALU_DEP_4) | instskip(NEXT) | instid1(VALU_DEP_1)
	v_dual_cndmask_b32 v3, v23, v21, vcc_lo :: v_dual_cndmask_b32 v13, v22, v20, vcc_lo
	v_dual_cndmask_b32 v3, v19, v3, s0 :: v_dual_cndmask_b32 v13, v18, v13, s0
	s_delay_alu instid0(VALU_DEP_1) | instskip(NEXT) | instid1(VALU_DEP_2)
	v_xor_b32_e32 v19, v3, v14
	v_xor_b32_e32 v18, v13, v14
	s_delay_alu instid0(VALU_DEP_1)
	v_sub_nc_u64_e32 v[14:15], v[18:19], v[14:15]
.LBB8_13:                               ;   in Loop: Header=BB8_2 Depth=1
	s_and_not1_saveexec_b32 s0, s25
	s_cbranch_execz .LBB8_15
; %bb.14:                               ;   in Loop: Header=BB8_2 Depth=1
	v_cvt_f32_u32_e32 v3, s10
	s_sub_co_i32 s2, 0, s10
	s_delay_alu instid0(VALU_DEP_1) | instskip(SKIP_1) | instid1(TRANS32_DEP_1)
	v_rcp_iflag_f32_e32 v3, v3
	v_nop
	v_mul_f32_e32 v3, 0x4f7ffffe, v3
	s_delay_alu instid0(VALU_DEP_1) | instskip(NEXT) | instid1(VALU_DEP_1)
	v_cvt_u32_f32_e32 v3, v3
	v_mul_lo_u32 v13, s2, v3
	s_delay_alu instid0(VALU_DEP_1) | instskip(NEXT) | instid1(VALU_DEP_1)
	v_mul_hi_u32 v13, v3, v13
	v_add_nc_u32_e32 v3, v3, v13
	s_delay_alu instid0(VALU_DEP_1) | instskip(NEXT) | instid1(VALU_DEP_1)
	v_mul_hi_u32 v3, v12, v3
	v_mul_lo_u32 v13, v3, s10
	s_delay_alu instid0(VALU_DEP_1) | instskip(NEXT) | instid1(VALU_DEP_1)
	v_dual_add_nc_u32 v14, 1, v3 :: v_dual_sub_nc_u32 v13, v12, v13
	v_subrev_nc_u32_e32 v15, s10, v13
	v_cmp_le_u32_e32 vcc_lo, s10, v13
	s_delay_alu instid0(VALU_DEP_2) | instskip(NEXT) | instid1(VALU_DEP_1)
	v_dual_cndmask_b32 v13, v13, v15, vcc_lo :: v_dual_cndmask_b32 v3, v3, v14, vcc_lo
	v_cmp_le_u32_e32 vcc_lo, s10, v13
	s_delay_alu instid0(VALU_DEP_2) | instskip(NEXT) | instid1(VALU_DEP_1)
	v_add_nc_u32_e32 v14, 1, v3
	v_cndmask_b32_e32 v14, v3, v14, vcc_lo
.LBB8_15:                               ;   in Loop: Header=BB8_2 Depth=1
	s_or_b32 exec_lo, exec_lo, s0
	v_lshl_add_u64 v[10:11], v[10:11], 1, s[6:7]
	v_add_nc_u64_e32 v[0:1], s[18:19], v[0:1]
	v_add_nc_u64_e32 v[6:7], s[20:21], v[6:7]
	s_and_not1_b32 s0, s35, exec_lo
	s_and_not1_b32 s34, s34, exec_lo
	global_load_u16 v3, v[10:11], off
	s_wait_xcnt 0x0
	v_mul_lo_u32 v10, v14, s10
	v_cmp_le_i64_e32 vcc_lo, s[4:5], v[0:1]
	s_and_b32 s2, vcc_lo, exec_lo
	s_delay_alu instid0(VALU_DEP_2) | instskip(SKIP_2) | instid1(VALU_DEP_2)
	v_sub_nc_u32_e32 v10, v12, v10
	v_ashrrev_i32_e32 v12, 31, v14
	s_or_b32 s35, s0, s2
	v_ashrrev_i32_e32 v11, 31, v10
	s_delay_alu instid0(VALU_DEP_1) | instskip(NEXT) | instid1(VALU_DEP_1)
	v_mad_nc_u64_u32 v[10:11], v14, s10, v[10:11]
	v_mad_u32 v11, v12, s10, v11
	s_delay_alu instid0(VALU_DEP_1) | instskip(NEXT) | instid1(VALU_DEP_1)
	v_mad_u32 v11, v14, s11, v11
	v_mul_u64_e32 v[10:11], s[16:17], v[10:11]
	s_delay_alu instid0(VALU_DEP_1) | instskip(NEXT) | instid1(VALU_DEP_1)
	v_lshl_add_u64 v[4:5], v[10:11], 1, v[4:5]
	v_lshl_add_u64 v[8:9], v[8:9], 1, v[4:5]
	s_wait_loadcnt 0x0
	global_store_b16 v[8:9], v3, off
.LBB8_16:                               ;   in Loop: Header=BB8_2 Depth=1
	s_wait_xcnt 0x0
	s_or_b32 exec_lo, exec_lo, s36
	s_delay_alu instid0(SALU_CYCLE_1) | instskip(NEXT) | instid1(SALU_CYCLE_1)
	s_and_b32 s0, exec_lo, s35
	s_or_b32 s1, s0, s1
	s_and_not1_b32 s0, s33, exec_lo
	s_and_b32 s2, s34, exec_lo
	s_delay_alu instid0(SALU_CYCLE_1)
	s_or_b32 s33, s0, s2
	s_and_not1_b32 exec_lo, exec_lo, s1
	s_cbranch_execnz .LBB8_2
; %bb.17:
	s_or_b32 exec_lo, exec_lo, s1
	s_and_saveexec_b32 s0, s33
	s_delay_alu instid0(SALU_CYCLE_1)
	s_xor_b32 s0, exec_lo, s0
	s_cbranch_execnz .LBB8_19
.LBB8_18:
	s_endpgm
.LBB8_19:
	s_trap 2
	; divergent unreachable
	s_endpgm
	.section	.rodata,"a",@progbits
	.p2align	6, 0x0
	.amdhsa_kernel _ZN2at6native30max_unpooling2d_forward_kernelIN3c108BFloat16EEEvlPKT_PKllllllPS4_
		.amdhsa_group_segment_fixed_size 0
		.amdhsa_private_segment_fixed_size 0
		.amdhsa_kernarg_size 328
		.amdhsa_user_sgpr_count 2
		.amdhsa_user_sgpr_dispatch_ptr 0
		.amdhsa_user_sgpr_queue_ptr 0
		.amdhsa_user_sgpr_kernarg_segment_ptr 1
		.amdhsa_user_sgpr_dispatch_id 0
		.amdhsa_user_sgpr_kernarg_preload_length 0
		.amdhsa_user_sgpr_kernarg_preload_offset 0
		.amdhsa_user_sgpr_private_segment_size 0
		.amdhsa_wavefront_size32 1
		.amdhsa_uses_dynamic_stack 0
		.amdhsa_enable_private_segment 0
		.amdhsa_system_sgpr_workgroup_id_x 1
		.amdhsa_system_sgpr_workgroup_id_y 0
		.amdhsa_system_sgpr_workgroup_id_z 0
		.amdhsa_system_sgpr_workgroup_info 0
		.amdhsa_system_vgpr_workitem_id 0
		.amdhsa_next_free_vgpr 30
		.amdhsa_next_free_sgpr 46
		.amdhsa_named_barrier_count 0
		.amdhsa_reserve_vcc 1
		.amdhsa_float_round_mode_32 0
		.amdhsa_float_round_mode_16_64 0
		.amdhsa_float_denorm_mode_32 3
		.amdhsa_float_denorm_mode_16_64 3
		.amdhsa_fp16_overflow 0
		.amdhsa_memory_ordered 1
		.amdhsa_forward_progress 1
		.amdhsa_inst_pref_size 22
		.amdhsa_round_robin_scheduling 0
		.amdhsa_exception_fp_ieee_invalid_op 0
		.amdhsa_exception_fp_denorm_src 0
		.amdhsa_exception_fp_ieee_div_zero 0
		.amdhsa_exception_fp_ieee_overflow 0
		.amdhsa_exception_fp_ieee_underflow 0
		.amdhsa_exception_fp_ieee_inexact 0
		.amdhsa_exception_int_div_zero 0
	.end_amdhsa_kernel
	.section	.text._ZN2at6native30max_unpooling2d_forward_kernelIN3c108BFloat16EEEvlPKT_PKllllllPS4_,"axG",@progbits,_ZN2at6native30max_unpooling2d_forward_kernelIN3c108BFloat16EEEvlPKT_PKllllllPS4_,comdat
.Lfunc_end8:
	.size	_ZN2at6native30max_unpooling2d_forward_kernelIN3c108BFloat16EEEvlPKT_PKllllllPS4_, .Lfunc_end8-_ZN2at6native30max_unpooling2d_forward_kernelIN3c108BFloat16EEEvlPKT_PKllllllPS4_
                                        ; -- End function
	.set _ZN2at6native30max_unpooling2d_forward_kernelIN3c108BFloat16EEEvlPKT_PKllllllPS4_.num_vgpr, 30
	.set _ZN2at6native30max_unpooling2d_forward_kernelIN3c108BFloat16EEEvlPKT_PKllllllPS4_.num_agpr, 0
	.set _ZN2at6native30max_unpooling2d_forward_kernelIN3c108BFloat16EEEvlPKT_PKllllllPS4_.numbered_sgpr, 46
	.set _ZN2at6native30max_unpooling2d_forward_kernelIN3c108BFloat16EEEvlPKT_PKllllllPS4_.num_named_barrier, 0
	.set _ZN2at6native30max_unpooling2d_forward_kernelIN3c108BFloat16EEEvlPKT_PKllllllPS4_.private_seg_size, 0
	.set _ZN2at6native30max_unpooling2d_forward_kernelIN3c108BFloat16EEEvlPKT_PKllllllPS4_.uses_vcc, 1
	.set _ZN2at6native30max_unpooling2d_forward_kernelIN3c108BFloat16EEEvlPKT_PKllllllPS4_.uses_flat_scratch, 0
	.set _ZN2at6native30max_unpooling2d_forward_kernelIN3c108BFloat16EEEvlPKT_PKllllllPS4_.has_dyn_sized_stack, 0
	.set _ZN2at6native30max_unpooling2d_forward_kernelIN3c108BFloat16EEEvlPKT_PKllllllPS4_.has_recursion, 0
	.set _ZN2at6native30max_unpooling2d_forward_kernelIN3c108BFloat16EEEvlPKT_PKllllllPS4_.has_indirect_call, 0
	.section	.AMDGPU.csdata,"",@progbits
; Kernel info:
; codeLenInByte = 2696
; TotalNumSgprs: 48
; NumVgprs: 30
; ScratchSize: 0
; MemoryBound: 0
; FloatMode: 240
; IeeeMode: 1
; LDSByteSize: 0 bytes/workgroup (compile time only)
; SGPRBlocks: 0
; VGPRBlocks: 1
; NumSGPRsForWavesPerEU: 48
; NumVGPRsForWavesPerEU: 30
; NamedBarCnt: 0
; Occupancy: 16
; WaveLimiterHint : 1
; COMPUTE_PGM_RSRC2:SCRATCH_EN: 0
; COMPUTE_PGM_RSRC2:USER_SGPR: 2
; COMPUTE_PGM_RSRC2:TRAP_HANDLER: 0
; COMPUTE_PGM_RSRC2:TGID_X_EN: 1
; COMPUTE_PGM_RSRC2:TGID_Y_EN: 0
; COMPUTE_PGM_RSRC2:TGID_Z_EN: 0
; COMPUTE_PGM_RSRC2:TIDIG_COMP_CNT: 0
	.section	.text._ZN2at6native30max_unpooling3d_forward_kernelIhEEvN5torch10headeronly6detail27GenericPackedTensorAccessorINS4_14TensorAccessorIN3c108ArrayRefIlEEKT_Lm3ENS3_16DefaultPtrTraitsElEENS_6detail16IndexBoundsCheckILm4ElEESB_Lm4ESC_lEENS5_INS6_IS9_KlLm3ESC_lEESG_SI_Lm4ESC_lEEPSA_llll,"axG",@progbits,_ZN2at6native30max_unpooling3d_forward_kernelIhEEvN5torch10headeronly6detail27GenericPackedTensorAccessorINS4_14TensorAccessorIN3c108ArrayRefIlEEKT_Lm3ENS3_16DefaultPtrTraitsElEENS_6detail16IndexBoundsCheckILm4ElEESB_Lm4ESC_lEENS5_INS6_IS9_KlLm3ESC_lEESG_SI_Lm4ESC_lEEPSA_llll,comdat
	.protected	_ZN2at6native30max_unpooling3d_forward_kernelIhEEvN5torch10headeronly6detail27GenericPackedTensorAccessorINS4_14TensorAccessorIN3c108ArrayRefIlEEKT_Lm3ENS3_16DefaultPtrTraitsElEENS_6detail16IndexBoundsCheckILm4ElEESB_Lm4ESC_lEENS5_INS6_IS9_KlLm3ESC_lEESG_SI_Lm4ESC_lEEPSA_llll ; -- Begin function _ZN2at6native30max_unpooling3d_forward_kernelIhEEvN5torch10headeronly6detail27GenericPackedTensorAccessorINS4_14TensorAccessorIN3c108ArrayRefIlEEKT_Lm3ENS3_16DefaultPtrTraitsElEENS_6detail16IndexBoundsCheckILm4ElEESB_Lm4ESC_lEENS5_INS6_IS9_KlLm3ESC_lEESG_SI_Lm4ESC_lEEPSA_llll
	.globl	_ZN2at6native30max_unpooling3d_forward_kernelIhEEvN5torch10headeronly6detail27GenericPackedTensorAccessorINS4_14TensorAccessorIN3c108ArrayRefIlEEKT_Lm3ENS3_16DefaultPtrTraitsElEENS_6detail16IndexBoundsCheckILm4ElEESB_Lm4ESC_lEENS5_INS6_IS9_KlLm3ESC_lEESG_SI_Lm4ESC_lEEPSA_llll
	.p2align	8
	.type	_ZN2at6native30max_unpooling3d_forward_kernelIhEEvN5torch10headeronly6detail27GenericPackedTensorAccessorINS4_14TensorAccessorIN3c108ArrayRefIlEEKT_Lm3ENS3_16DefaultPtrTraitsElEENS_6detail16IndexBoundsCheckILm4ElEESB_Lm4ESC_lEENS5_INS6_IS9_KlLm3ESC_lEESG_SI_Lm4ESC_lEEPSA_llll,@function
_ZN2at6native30max_unpooling3d_forward_kernelIhEEvN5torch10headeronly6detail27GenericPackedTensorAccessorINS4_14TensorAccessorIN3c108ArrayRefIlEEKT_Lm3ENS3_16DefaultPtrTraitsElEENS_6detail16IndexBoundsCheckILm4ElEESB_Lm4ESC_lEENS5_INS6_IS9_KlLm3ESC_lEESG_SI_Lm4ESC_lEEPSA_llll: ; @_ZN2at6native30max_unpooling3d_forward_kernelIhEEvN5torch10headeronly6detail27GenericPackedTensorAccessorINS4_14TensorAccessorIN3c108ArrayRefIlEEKT_Lm3ENS3_16DefaultPtrTraitsElEENS_6detail16IndexBoundsCheckILm4ElEESB_Lm4ESC_lEENS5_INS6_IS9_KlLm3ESC_lEESG_SI_Lm4ESC_lEEPSA_llll
; %bb.0:
	s_clause 0x1
	s_load_b64 s[6:7], s[0:1], 0xb0
	s_load_b64 s[4:5], s[0:1], 0x10
	s_bfe_u32 s2, ttmp6, 0x40014
	s_lshr_b32 s8, ttmp7, 16
	s_add_co_i32 s2, s2, 1
	s_bfe_u32 s3, ttmp6, 0x40008
	s_mul_i32 s2, s8, s2
	s_getreg_b32 s14, hwreg(HW_REG_IB_STS2, 6, 4)
	s_add_co_i32 s2, s3, s2
	s_cmp_eq_u32 s14, 0
	s_mov_b32 s3, 0
	s_cselect_b32 s2, s8, s2
	s_wait_kmcnt 0x0
	s_add_nc_u64 s[6:7], s[6:7], s[2:3]
	s_delay_alu instid0(SALU_CYCLE_1) | instskip(NEXT) | instid1(SALU_CYCLE_1)
	s_or_b64 s[8:9], s[6:7], s[4:5]
	s_and_b64 s[8:9], s[8:9], 0xffffffff00000000
	s_delay_alu instid0(SALU_CYCLE_1)
	s_cmp_lg_u64 s[8:9], 0
	s_cbranch_scc0 .LBB9_8
; %bb.1:
	s_ashr_i32 s8, s5, 31
	s_delay_alu instid0(SALU_CYCLE_1) | instskip(NEXT) | instid1(SALU_CYCLE_1)
	s_mov_b32 s9, s8
	s_add_nc_u64 s[10:11], s[4:5], s[8:9]
	s_delay_alu instid0(SALU_CYCLE_1) | instskip(NEXT) | instid1(SALU_CYCLE_1)
	s_xor_b64 s[10:11], s[10:11], s[8:9]
	s_cvt_f32_u32 s2, s10
	s_cvt_f32_u32 s12, s11
	s_sub_nc_u64 s[16:17], 0, s[10:11]
	s_delay_alu instid0(SALU_CYCLE_2) | instskip(NEXT) | instid1(SALU_CYCLE_3)
	s_fmamk_f32 s2, s12, 0x4f800000, s2
	v_s_rcp_f32 s2, s2
	s_delay_alu instid0(TRANS32_DEP_1) | instskip(NEXT) | instid1(SALU_CYCLE_3)
	s_mul_f32 s2, s2, 0x5f7ffffc
	s_mul_f32 s12, s2, 0x2f800000
	s_delay_alu instid0(SALU_CYCLE_3) | instskip(NEXT) | instid1(SALU_CYCLE_3)
	s_trunc_f32 s12, s12
	s_fmamk_f32 s2, s12, 0xcf800000, s2
	s_cvt_u32_f32 s13, s12
	s_delay_alu instid0(SALU_CYCLE_2) | instskip(NEXT) | instid1(SALU_CYCLE_3)
	s_cvt_u32_f32 s12, s2
	s_mul_u64 s[18:19], s[16:17], s[12:13]
	s_delay_alu instid0(SALU_CYCLE_1)
	s_mul_hi_u32 s21, s12, s19
	s_mul_i32 s20, s12, s19
	s_mul_hi_u32 s2, s12, s18
	s_mul_i32 s22, s13, s18
	s_add_nc_u64 s[20:21], s[2:3], s[20:21]
	s_mul_hi_u32 s15, s13, s18
	s_mul_hi_u32 s23, s13, s19
	s_add_co_u32 s2, s20, s22
	s_add_co_ci_u32 s2, s21, s15
	s_mul_i32 s18, s13, s19
	s_add_co_ci_u32 s19, s23, 0
	s_delay_alu instid0(SALU_CYCLE_1) | instskip(NEXT) | instid1(SALU_CYCLE_1)
	s_add_nc_u64 s[18:19], s[2:3], s[18:19]
	s_add_co_u32 s12, s12, s18
	s_cselect_b32 s2, -1, 0
	s_delay_alu instid0(SALU_CYCLE_1) | instskip(SKIP_1) | instid1(SALU_CYCLE_1)
	s_cmp_lg_u32 s2, 0
	s_add_co_ci_u32 s13, s13, s19
	s_mul_u64 s[16:17], s[16:17], s[12:13]
	s_delay_alu instid0(SALU_CYCLE_1)
	s_mul_hi_u32 s19, s12, s17
	s_mul_i32 s18, s12, s17
	s_mul_hi_u32 s2, s12, s16
	s_mul_i32 s20, s13, s16
	s_add_nc_u64 s[18:19], s[2:3], s[18:19]
	s_mul_hi_u32 s15, s13, s16
	s_mul_hi_u32 s21, s13, s17
	s_add_co_u32 s2, s18, s20
	s_add_co_ci_u32 s2, s19, s15
	s_mul_i32 s16, s13, s17
	s_add_co_ci_u32 s17, s21, 0
	s_delay_alu instid0(SALU_CYCLE_1) | instskip(NEXT) | instid1(SALU_CYCLE_1)
	s_add_nc_u64 s[16:17], s[2:3], s[16:17]
	s_add_co_u32 s15, s12, s16
	s_cselect_b32 s2, -1, 0
	s_delay_alu instid0(SALU_CYCLE_1) | instskip(SKIP_2) | instid1(SALU_CYCLE_1)
	s_cmp_lg_u32 s2, 0
	s_add_co_ci_u32 s20, s13, s17
	s_ashr_i32 s12, s7, 31
	s_mov_b32 s13, s12
	s_delay_alu instid0(SALU_CYCLE_1) | instskip(NEXT) | instid1(SALU_CYCLE_1)
	s_add_nc_u64 s[16:17], s[6:7], s[12:13]
	s_xor_b64 s[16:17], s[16:17], s[12:13]
	s_delay_alu instid0(SALU_CYCLE_1)
	s_mul_hi_u32 s19, s16, s20
	s_mul_i32 s18, s16, s20
	s_mul_hi_u32 s2, s16, s15
	s_mul_hi_u32 s22, s17, s15
	s_mul_i32 s15, s17, s15
	s_add_nc_u64 s[18:19], s[2:3], s[18:19]
	s_mul_hi_u32 s21, s17, s20
	s_add_co_u32 s2, s18, s15
	s_add_co_ci_u32 s2, s19, s22
	s_mul_i32 s20, s17, s20
	s_add_co_ci_u32 s21, s21, 0
	s_delay_alu instid0(SALU_CYCLE_1) | instskip(NEXT) | instid1(SALU_CYCLE_1)
	s_add_nc_u64 s[18:19], s[2:3], s[20:21]
	s_and_b64 s[20:21], s[18:19], 0xffffffff00000000
	s_delay_alu instid0(SALU_CYCLE_1) | instskip(NEXT) | instid1(SALU_CYCLE_1)
	s_or_b32 s20, s20, s18
	s_mul_u64 s[18:19], s[10:11], s[20:21]
	s_delay_alu instid0(SALU_CYCLE_1)
	s_sub_co_u32 s2, s16, s18
	s_cselect_b32 s15, -1, 0
	s_sub_co_i32 s16, s17, s19
	s_cmp_lg_u32 s15, 0
	s_sub_co_ci_u32 s16, s16, s11
	s_sub_co_u32 s18, s2, s10
	s_cselect_b32 s22, -1, 0
	s_delay_alu instid0(SALU_CYCLE_1) | instskip(SKIP_2) | instid1(SALU_CYCLE_1)
	s_cmp_lg_u32 s22, 0
	s_add_nc_u64 s[22:23], s[20:21], 1
	s_sub_co_ci_u32 s16, s16, 0
	s_cmp_ge_u32 s16, s11
	s_cselect_b32 s24, -1, 0
	s_cmp_ge_u32 s18, s10
	s_cselect_b32 s18, -1, 0
	s_cmp_eq_u32 s16, s11
	s_cselect_b32 s16, s18, s24
	s_add_nc_u64 s[24:25], s[20:21], 2
	s_cmp_lg_u32 s16, 0
	s_cselect_b32 s16, s24, s22
	s_cselect_b32 s18, s25, s23
	s_cmp_lg_u32 s15, 0
	s_sub_co_ci_u32 s15, s17, s19
	s_delay_alu instid0(SALU_CYCLE_1)
	s_cmp_ge_u32 s15, s11
	s_cselect_b32 s17, -1, 0
	s_cmp_ge_u32 s2, s10
	s_cselect_b32 s2, -1, 0
	s_cmp_eq_u32 s15, s11
	s_cselect_b32 s2, s2, s17
	s_delay_alu instid0(SALU_CYCLE_1) | instskip(SKIP_3) | instid1(SALU_CYCLE_1)
	s_cmp_lg_u32 s2, 0
	s_cselect_b32 s11, s18, s21
	s_cselect_b32 s10, s16, s20
	s_xor_b64 s[8:9], s[12:13], s[8:9]
	s_xor_b64 s[10:11], s[10:11], s[8:9]
	s_delay_alu instid0(SALU_CYCLE_1)
	s_sub_nc_u64 s[12:13], s[10:11], s[8:9]
	s_load_b32 s2, s[0:1], 0xc4
	s_and_not1_b32 vcc_lo, exec_lo, s3
	s_cbranch_vccnz .LBB9_3
.LBB9_2:
	v_cvt_f32_u32_e32 v1, s4
	s_sub_co_i32 s8, 0, s4
	s_mov_b32 s13, 0
	s_delay_alu instid0(VALU_DEP_1) | instskip(SKIP_1) | instid1(TRANS32_DEP_1)
	v_rcp_iflag_f32_e32 v1, v1
	v_nop
	v_mul_f32_e32 v1, 0x4f7ffffe, v1
	s_delay_alu instid0(VALU_DEP_1) | instskip(NEXT) | instid1(VALU_DEP_1)
	v_cvt_u32_f32_e32 v1, v1
	v_readfirstlane_b32 s3, v1
	s_mul_i32 s8, s8, s3
	s_delay_alu instid0(SALU_CYCLE_1) | instskip(NEXT) | instid1(SALU_CYCLE_1)
	s_mul_hi_u32 s8, s3, s8
	s_add_co_i32 s3, s3, s8
	s_delay_alu instid0(SALU_CYCLE_1) | instskip(NEXT) | instid1(SALU_CYCLE_1)
	s_mul_hi_u32 s3, s6, s3
	s_mul_i32 s8, s3, s4
	s_add_co_i32 s9, s3, 1
	s_sub_co_i32 s8, s6, s8
	s_delay_alu instid0(SALU_CYCLE_1)
	s_sub_co_i32 s10, s8, s4
	s_cmp_ge_u32 s8, s4
	s_cselect_b32 s3, s9, s3
	s_cselect_b32 s8, s10, s8
	s_add_co_i32 s9, s3, 1
	s_cmp_ge_u32 s8, s4
	s_cselect_b32 s12, s9, s3
.LBB9_3:
	s_bfe_u32 s8, ttmp6, 0x40010
	s_and_b32 s15, ttmp7, 0xffff
	s_add_co_i32 s8, s8, 1
	s_bfe_u32 s17, ttmp6, 0x40004
	s_mul_i32 s16, s15, s8
	s_bfe_u32 s8, ttmp6, 0x4000c
	s_and_b32 s18, ttmp6, 15
	s_add_co_i32 s8, s8, 1
	s_wait_kmcnt 0x0
	s_lshr_b32 s3, s2, 16
	s_mul_i32 s19, ttmp9, s8
	s_load_b128 s[8:11], s[0:1], 0x18
	v_and_b32_e32 v2, 0x3ff, v0
	v_mov_b32_e32 v3, 0
	s_and_b32 s2, s2, 0xffff
	s_add_co_i32 s17, s17, s16
	s_add_co_i32 s18, s18, s19
	v_bfe_u32 v4, v0, 10, 10
	s_cmp_eq_u32 s14, 0
	s_cselect_b32 s14, ttmp9, s18
	s_cselect_b32 s15, s15, s17
	v_mad_nc_u64_u32 v[0:1], s2, s14, v[2:3]
	v_mad_u32 v2, s15, s3, v4
	s_wait_kmcnt 0x0
	s_delay_alu instid0(VALU_DEP_2) | instskip(NEXT) | instid1(VALU_DEP_2)
	v_cmp_gt_i64_e64 s2, s[10:11], v[0:1]
	v_cmp_gt_i64_e32 vcc_lo, s[8:9], v[2:3]
	s_and_b32 s2, vcc_lo, s2
	s_delay_alu instid0(SALU_CYCLE_1)
	s_and_saveexec_b32 s3, s2
	s_cbranch_execz .LBB9_7
; %bb.4:
	s_clause 0x1
	s_load_b256 s[16:23], s[0:1], 0x70
	s_load_b64 s[2:3], s[0:1], 0x48
	s_mul_u64 s[4:5], s[12:13], s[4:5]
	s_delay_alu instid0(SALU_CYCLE_1)
	s_sub_nc_u64 s[14:15], s[6:7], s[4:5]
	s_wait_kmcnt 0x0
	v_mul_u64_e32 v[4:5], s[20:21], v[2:3]
	v_mul_u64_e32 v[6:7], s[22:23], v[0:1]
	s_mul_u64 s[4:5], s[16:17], s[12:13]
	s_mul_u64 s[6:7], s[18:19], s[14:15]
	s_lshl_b64 s[4:5], s[4:5], 3
	s_lshl_b64 s[6:7], s[6:7], 3
	s_add_nc_u64 s[2:3], s[2:3], s[4:5]
	s_delay_alu instid0(SALU_CYCLE_1) | instskip(SKIP_1) | instid1(VALU_DEP_2)
	s_add_nc_u64 s[2:3], s[2:3], s[6:7]
	s_load_b256 s[4:11], s[0:1], 0x90
	v_lshl_add_u64 v[4:5], v[4:5], 3, s[2:3]
	s_wait_kmcnt 0x0
	s_mul_u64 s[2:3], s[8:9], s[6:7]
	s_delay_alu instid0(SALU_CYCLE_1) | instskip(NEXT) | instid1(VALU_DEP_1)
	s_mul_u64 s[6:7], s[2:3], s[10:11]
	v_lshl_add_u64 v[4:5], v[6:7], 3, v[4:5]
	global_load_b64 v[4:5], v[4:5], off
	s_wait_loadcnt 0x0
	v_cmp_lt_i64_e32 vcc_lo, -1, v[4:5]
	v_cmp_gt_i64_e64 s2, s[6:7], v[4:5]
	s_and_b32 s2, vcc_lo, s2
	s_delay_alu instid0(SALU_CYCLE_1) | instskip(NEXT) | instid1(SALU_CYCLE_1)
	s_and_saveexec_b32 s3, s2
	s_xor_b32 s2, exec_lo, s3
	s_cbranch_execz .LBB9_6
; %bb.5:
	s_clause 0x1
	s_load_b256 s[16:23], s[0:1], 0x28
	s_load_b64 s[8:9], s[0:1], 0x0
	s_wait_kmcnt 0x0
	s_mul_u64 s[0:1], s[16:17], s[12:13]
	s_delay_alu instid0(SALU_CYCLE_1) | instskip(SKIP_1) | instid1(SALU_CYCLE_1)
	s_add_nc_u64 s[0:1], s[8:9], s[0:1]
	s_mul_u64 s[8:9], s[18:19], s[14:15]
	s_add_nc_u64 s[0:1], s[0:1], s[8:9]
	s_delay_alu instid0(SALU_CYCLE_1) | instskip(SKIP_1) | instid1(SALU_CYCLE_1)
	v_mad_nc_u64_u32 v[6:7], s20, v2, s[0:1]
	s_mul_u64 s[0:1], s[6:7], s[12:13]
	s_add_nc_u64 s[0:1], s[4:5], s[0:1]
	s_delay_alu instid0(VALU_DEP_1) | instskip(NEXT) | instid1(VALU_DEP_1)
	v_mad_u32 v7, s21, v2, v7
	v_mad_nc_u64_u32 v[2:3], s22, v0, v[6:7]
	s_delay_alu instid0(VALU_DEP_1) | instskip(NEXT) | instid1(VALU_DEP_1)
	v_mad_u32 v0, s23, v0, v3
	v_mad_u32 v3, s22, v1, v0
	v_add_nc_u64_e32 v[0:1], s[0:1], v[4:5]
	global_load_u8 v2, v[2:3], off
	s_wait_loadcnt 0x0
	global_store_b8 v[0:1], v2, off
.LBB9_6:
	s_wait_xcnt 0x0
	s_and_not1_saveexec_b32 s0, s2
	s_cbranch_execnz .LBB9_9
.LBB9_7:
	s_endpgm
.LBB9_8:
                                        ; implicit-def: $sgpr12_sgpr13
	s_load_b32 s2, s[0:1], 0xc4
	s_branch .LBB9_2
.LBB9_9:
	s_trap 2
	; divergent unreachable
	s_endpgm
	.section	.rodata,"a",@progbits
	.p2align	6, 0x0
	.amdhsa_kernel _ZN2at6native30max_unpooling3d_forward_kernelIhEEvN5torch10headeronly6detail27GenericPackedTensorAccessorINS4_14TensorAccessorIN3c108ArrayRefIlEEKT_Lm3ENS3_16DefaultPtrTraitsElEENS_6detail16IndexBoundsCheckILm4ElEESB_Lm4ESC_lEENS5_INS6_IS9_KlLm3ESC_lEESG_SI_Lm4ESC_lEEPSA_llll
		.amdhsa_group_segment_fixed_size 0
		.amdhsa_private_segment_fixed_size 0
		.amdhsa_kernarg_size 440
		.amdhsa_user_sgpr_count 2
		.amdhsa_user_sgpr_dispatch_ptr 0
		.amdhsa_user_sgpr_queue_ptr 0
		.amdhsa_user_sgpr_kernarg_segment_ptr 1
		.amdhsa_user_sgpr_dispatch_id 0
		.amdhsa_user_sgpr_kernarg_preload_length 0
		.amdhsa_user_sgpr_kernarg_preload_offset 0
		.amdhsa_user_sgpr_private_segment_size 0
		.amdhsa_wavefront_size32 1
		.amdhsa_uses_dynamic_stack 0
		.amdhsa_enable_private_segment 0
		.amdhsa_system_sgpr_workgroup_id_x 1
		.amdhsa_system_sgpr_workgroup_id_y 1
		.amdhsa_system_sgpr_workgroup_id_z 1
		.amdhsa_system_sgpr_workgroup_info 0
		.amdhsa_system_vgpr_workitem_id 1
		.amdhsa_next_free_vgpr 8
		.amdhsa_next_free_sgpr 26
		.amdhsa_named_barrier_count 0
		.amdhsa_reserve_vcc 1
		.amdhsa_float_round_mode_32 0
		.amdhsa_float_round_mode_16_64 0
		.amdhsa_float_denorm_mode_32 3
		.amdhsa_float_denorm_mode_16_64 3
		.amdhsa_fp16_overflow 0
		.amdhsa_memory_ordered 1
		.amdhsa_forward_progress 1
		.amdhsa_inst_pref_size 10
		.amdhsa_round_robin_scheduling 0
		.amdhsa_exception_fp_ieee_invalid_op 0
		.amdhsa_exception_fp_denorm_src 0
		.amdhsa_exception_fp_ieee_div_zero 0
		.amdhsa_exception_fp_ieee_overflow 0
		.amdhsa_exception_fp_ieee_underflow 0
		.amdhsa_exception_fp_ieee_inexact 0
		.amdhsa_exception_int_div_zero 0
	.end_amdhsa_kernel
	.section	.text._ZN2at6native30max_unpooling3d_forward_kernelIhEEvN5torch10headeronly6detail27GenericPackedTensorAccessorINS4_14TensorAccessorIN3c108ArrayRefIlEEKT_Lm3ENS3_16DefaultPtrTraitsElEENS_6detail16IndexBoundsCheckILm4ElEESB_Lm4ESC_lEENS5_INS6_IS9_KlLm3ESC_lEESG_SI_Lm4ESC_lEEPSA_llll,"axG",@progbits,_ZN2at6native30max_unpooling3d_forward_kernelIhEEvN5torch10headeronly6detail27GenericPackedTensorAccessorINS4_14TensorAccessorIN3c108ArrayRefIlEEKT_Lm3ENS3_16DefaultPtrTraitsElEENS_6detail16IndexBoundsCheckILm4ElEESB_Lm4ESC_lEENS5_INS6_IS9_KlLm3ESC_lEESG_SI_Lm4ESC_lEEPSA_llll,comdat
.Lfunc_end9:
	.size	_ZN2at6native30max_unpooling3d_forward_kernelIhEEvN5torch10headeronly6detail27GenericPackedTensorAccessorINS4_14TensorAccessorIN3c108ArrayRefIlEEKT_Lm3ENS3_16DefaultPtrTraitsElEENS_6detail16IndexBoundsCheckILm4ElEESB_Lm4ESC_lEENS5_INS6_IS9_KlLm3ESC_lEESG_SI_Lm4ESC_lEEPSA_llll, .Lfunc_end9-_ZN2at6native30max_unpooling3d_forward_kernelIhEEvN5torch10headeronly6detail27GenericPackedTensorAccessorINS4_14TensorAccessorIN3c108ArrayRefIlEEKT_Lm3ENS3_16DefaultPtrTraitsElEENS_6detail16IndexBoundsCheckILm4ElEESB_Lm4ESC_lEENS5_INS6_IS9_KlLm3ESC_lEESG_SI_Lm4ESC_lEEPSA_llll
                                        ; -- End function
	.set _ZN2at6native30max_unpooling3d_forward_kernelIhEEvN5torch10headeronly6detail27GenericPackedTensorAccessorINS4_14TensorAccessorIN3c108ArrayRefIlEEKT_Lm3ENS3_16DefaultPtrTraitsElEENS_6detail16IndexBoundsCheckILm4ElEESB_Lm4ESC_lEENS5_INS6_IS9_KlLm3ESC_lEESG_SI_Lm4ESC_lEEPSA_llll.num_vgpr, 8
	.set _ZN2at6native30max_unpooling3d_forward_kernelIhEEvN5torch10headeronly6detail27GenericPackedTensorAccessorINS4_14TensorAccessorIN3c108ArrayRefIlEEKT_Lm3ENS3_16DefaultPtrTraitsElEENS_6detail16IndexBoundsCheckILm4ElEESB_Lm4ESC_lEENS5_INS6_IS9_KlLm3ESC_lEESG_SI_Lm4ESC_lEEPSA_llll.num_agpr, 0
	.set _ZN2at6native30max_unpooling3d_forward_kernelIhEEvN5torch10headeronly6detail27GenericPackedTensorAccessorINS4_14TensorAccessorIN3c108ArrayRefIlEEKT_Lm3ENS3_16DefaultPtrTraitsElEENS_6detail16IndexBoundsCheckILm4ElEESB_Lm4ESC_lEENS5_INS6_IS9_KlLm3ESC_lEESG_SI_Lm4ESC_lEEPSA_llll.numbered_sgpr, 26
	.set _ZN2at6native30max_unpooling3d_forward_kernelIhEEvN5torch10headeronly6detail27GenericPackedTensorAccessorINS4_14TensorAccessorIN3c108ArrayRefIlEEKT_Lm3ENS3_16DefaultPtrTraitsElEENS_6detail16IndexBoundsCheckILm4ElEESB_Lm4ESC_lEENS5_INS6_IS9_KlLm3ESC_lEESG_SI_Lm4ESC_lEEPSA_llll.num_named_barrier, 0
	.set _ZN2at6native30max_unpooling3d_forward_kernelIhEEvN5torch10headeronly6detail27GenericPackedTensorAccessorINS4_14TensorAccessorIN3c108ArrayRefIlEEKT_Lm3ENS3_16DefaultPtrTraitsElEENS_6detail16IndexBoundsCheckILm4ElEESB_Lm4ESC_lEENS5_INS6_IS9_KlLm3ESC_lEESG_SI_Lm4ESC_lEEPSA_llll.private_seg_size, 0
	.set _ZN2at6native30max_unpooling3d_forward_kernelIhEEvN5torch10headeronly6detail27GenericPackedTensorAccessorINS4_14TensorAccessorIN3c108ArrayRefIlEEKT_Lm3ENS3_16DefaultPtrTraitsElEENS_6detail16IndexBoundsCheckILm4ElEESB_Lm4ESC_lEENS5_INS6_IS9_KlLm3ESC_lEESG_SI_Lm4ESC_lEEPSA_llll.uses_vcc, 1
	.set _ZN2at6native30max_unpooling3d_forward_kernelIhEEvN5torch10headeronly6detail27GenericPackedTensorAccessorINS4_14TensorAccessorIN3c108ArrayRefIlEEKT_Lm3ENS3_16DefaultPtrTraitsElEENS_6detail16IndexBoundsCheckILm4ElEESB_Lm4ESC_lEENS5_INS6_IS9_KlLm3ESC_lEESG_SI_Lm4ESC_lEEPSA_llll.uses_flat_scratch, 0
	.set _ZN2at6native30max_unpooling3d_forward_kernelIhEEvN5torch10headeronly6detail27GenericPackedTensorAccessorINS4_14TensorAccessorIN3c108ArrayRefIlEEKT_Lm3ENS3_16DefaultPtrTraitsElEENS_6detail16IndexBoundsCheckILm4ElEESB_Lm4ESC_lEENS5_INS6_IS9_KlLm3ESC_lEESG_SI_Lm4ESC_lEEPSA_llll.has_dyn_sized_stack, 0
	.set _ZN2at6native30max_unpooling3d_forward_kernelIhEEvN5torch10headeronly6detail27GenericPackedTensorAccessorINS4_14TensorAccessorIN3c108ArrayRefIlEEKT_Lm3ENS3_16DefaultPtrTraitsElEENS_6detail16IndexBoundsCheckILm4ElEESB_Lm4ESC_lEENS5_INS6_IS9_KlLm3ESC_lEESG_SI_Lm4ESC_lEEPSA_llll.has_recursion, 0
	.set _ZN2at6native30max_unpooling3d_forward_kernelIhEEvN5torch10headeronly6detail27GenericPackedTensorAccessorINS4_14TensorAccessorIN3c108ArrayRefIlEEKT_Lm3ENS3_16DefaultPtrTraitsElEENS_6detail16IndexBoundsCheckILm4ElEESB_Lm4ESC_lEENS5_INS6_IS9_KlLm3ESC_lEESG_SI_Lm4ESC_lEEPSA_llll.has_indirect_call, 0
	.section	.AMDGPU.csdata,"",@progbits
; Kernel info:
; codeLenInByte = 1256
; TotalNumSgprs: 28
; NumVgprs: 8
; ScratchSize: 0
; MemoryBound: 0
; FloatMode: 240
; IeeeMode: 1
; LDSByteSize: 0 bytes/workgroup (compile time only)
; SGPRBlocks: 0
; VGPRBlocks: 0
; NumSGPRsForWavesPerEU: 28
; NumVGPRsForWavesPerEU: 8
; NamedBarCnt: 0
; Occupancy: 16
; WaveLimiterHint : 1
; COMPUTE_PGM_RSRC2:SCRATCH_EN: 0
; COMPUTE_PGM_RSRC2:USER_SGPR: 2
; COMPUTE_PGM_RSRC2:TRAP_HANDLER: 0
; COMPUTE_PGM_RSRC2:TGID_X_EN: 1
; COMPUTE_PGM_RSRC2:TGID_Y_EN: 1
; COMPUTE_PGM_RSRC2:TGID_Z_EN: 1
; COMPUTE_PGM_RSRC2:TIDIG_COMP_CNT: 1
	.section	.text._ZN2at6native30max_unpooling3d_forward_kernelIaEEvN5torch10headeronly6detail27GenericPackedTensorAccessorINS4_14TensorAccessorIN3c108ArrayRefIlEEKT_Lm3ENS3_16DefaultPtrTraitsElEENS_6detail16IndexBoundsCheckILm4ElEESB_Lm4ESC_lEENS5_INS6_IS9_KlLm3ESC_lEESG_SI_Lm4ESC_lEEPSA_llll,"axG",@progbits,_ZN2at6native30max_unpooling3d_forward_kernelIaEEvN5torch10headeronly6detail27GenericPackedTensorAccessorINS4_14TensorAccessorIN3c108ArrayRefIlEEKT_Lm3ENS3_16DefaultPtrTraitsElEENS_6detail16IndexBoundsCheckILm4ElEESB_Lm4ESC_lEENS5_INS6_IS9_KlLm3ESC_lEESG_SI_Lm4ESC_lEEPSA_llll,comdat
	.protected	_ZN2at6native30max_unpooling3d_forward_kernelIaEEvN5torch10headeronly6detail27GenericPackedTensorAccessorINS4_14TensorAccessorIN3c108ArrayRefIlEEKT_Lm3ENS3_16DefaultPtrTraitsElEENS_6detail16IndexBoundsCheckILm4ElEESB_Lm4ESC_lEENS5_INS6_IS9_KlLm3ESC_lEESG_SI_Lm4ESC_lEEPSA_llll ; -- Begin function _ZN2at6native30max_unpooling3d_forward_kernelIaEEvN5torch10headeronly6detail27GenericPackedTensorAccessorINS4_14TensorAccessorIN3c108ArrayRefIlEEKT_Lm3ENS3_16DefaultPtrTraitsElEENS_6detail16IndexBoundsCheckILm4ElEESB_Lm4ESC_lEENS5_INS6_IS9_KlLm3ESC_lEESG_SI_Lm4ESC_lEEPSA_llll
	.globl	_ZN2at6native30max_unpooling3d_forward_kernelIaEEvN5torch10headeronly6detail27GenericPackedTensorAccessorINS4_14TensorAccessorIN3c108ArrayRefIlEEKT_Lm3ENS3_16DefaultPtrTraitsElEENS_6detail16IndexBoundsCheckILm4ElEESB_Lm4ESC_lEENS5_INS6_IS9_KlLm3ESC_lEESG_SI_Lm4ESC_lEEPSA_llll
	.p2align	8
	.type	_ZN2at6native30max_unpooling3d_forward_kernelIaEEvN5torch10headeronly6detail27GenericPackedTensorAccessorINS4_14TensorAccessorIN3c108ArrayRefIlEEKT_Lm3ENS3_16DefaultPtrTraitsElEENS_6detail16IndexBoundsCheckILm4ElEESB_Lm4ESC_lEENS5_INS6_IS9_KlLm3ESC_lEESG_SI_Lm4ESC_lEEPSA_llll,@function
_ZN2at6native30max_unpooling3d_forward_kernelIaEEvN5torch10headeronly6detail27GenericPackedTensorAccessorINS4_14TensorAccessorIN3c108ArrayRefIlEEKT_Lm3ENS3_16DefaultPtrTraitsElEENS_6detail16IndexBoundsCheckILm4ElEESB_Lm4ESC_lEENS5_INS6_IS9_KlLm3ESC_lEESG_SI_Lm4ESC_lEEPSA_llll: ; @_ZN2at6native30max_unpooling3d_forward_kernelIaEEvN5torch10headeronly6detail27GenericPackedTensorAccessorINS4_14TensorAccessorIN3c108ArrayRefIlEEKT_Lm3ENS3_16DefaultPtrTraitsElEENS_6detail16IndexBoundsCheckILm4ElEESB_Lm4ESC_lEENS5_INS6_IS9_KlLm3ESC_lEESG_SI_Lm4ESC_lEEPSA_llll
; %bb.0:
	s_clause 0x1
	s_load_b64 s[6:7], s[0:1], 0xb0
	s_load_b64 s[4:5], s[0:1], 0x10
	s_bfe_u32 s2, ttmp6, 0x40014
	s_lshr_b32 s8, ttmp7, 16
	s_add_co_i32 s2, s2, 1
	s_bfe_u32 s3, ttmp6, 0x40008
	s_mul_i32 s2, s8, s2
	s_getreg_b32 s14, hwreg(HW_REG_IB_STS2, 6, 4)
	s_add_co_i32 s2, s3, s2
	s_cmp_eq_u32 s14, 0
	s_mov_b32 s3, 0
	s_cselect_b32 s2, s8, s2
	s_wait_kmcnt 0x0
	s_add_nc_u64 s[6:7], s[6:7], s[2:3]
	s_delay_alu instid0(SALU_CYCLE_1) | instskip(NEXT) | instid1(SALU_CYCLE_1)
	s_or_b64 s[8:9], s[6:7], s[4:5]
	s_and_b64 s[8:9], s[8:9], 0xffffffff00000000
	s_delay_alu instid0(SALU_CYCLE_1)
	s_cmp_lg_u64 s[8:9], 0
	s_cbranch_scc0 .LBB10_8
; %bb.1:
	s_ashr_i32 s8, s5, 31
	s_delay_alu instid0(SALU_CYCLE_1) | instskip(NEXT) | instid1(SALU_CYCLE_1)
	s_mov_b32 s9, s8
	s_add_nc_u64 s[10:11], s[4:5], s[8:9]
	s_delay_alu instid0(SALU_CYCLE_1) | instskip(NEXT) | instid1(SALU_CYCLE_1)
	s_xor_b64 s[10:11], s[10:11], s[8:9]
	s_cvt_f32_u32 s2, s10
	s_cvt_f32_u32 s12, s11
	s_sub_nc_u64 s[16:17], 0, s[10:11]
	s_delay_alu instid0(SALU_CYCLE_2) | instskip(NEXT) | instid1(SALU_CYCLE_3)
	s_fmamk_f32 s2, s12, 0x4f800000, s2
	v_s_rcp_f32 s2, s2
	s_delay_alu instid0(TRANS32_DEP_1) | instskip(NEXT) | instid1(SALU_CYCLE_3)
	s_mul_f32 s2, s2, 0x5f7ffffc
	s_mul_f32 s12, s2, 0x2f800000
	s_delay_alu instid0(SALU_CYCLE_3) | instskip(NEXT) | instid1(SALU_CYCLE_3)
	s_trunc_f32 s12, s12
	s_fmamk_f32 s2, s12, 0xcf800000, s2
	s_cvt_u32_f32 s13, s12
	s_delay_alu instid0(SALU_CYCLE_2) | instskip(NEXT) | instid1(SALU_CYCLE_3)
	s_cvt_u32_f32 s12, s2
	s_mul_u64 s[18:19], s[16:17], s[12:13]
	s_delay_alu instid0(SALU_CYCLE_1)
	s_mul_hi_u32 s21, s12, s19
	s_mul_i32 s20, s12, s19
	s_mul_hi_u32 s2, s12, s18
	s_mul_i32 s22, s13, s18
	s_add_nc_u64 s[20:21], s[2:3], s[20:21]
	s_mul_hi_u32 s15, s13, s18
	s_mul_hi_u32 s23, s13, s19
	s_add_co_u32 s2, s20, s22
	s_add_co_ci_u32 s2, s21, s15
	s_mul_i32 s18, s13, s19
	s_add_co_ci_u32 s19, s23, 0
	s_delay_alu instid0(SALU_CYCLE_1) | instskip(NEXT) | instid1(SALU_CYCLE_1)
	s_add_nc_u64 s[18:19], s[2:3], s[18:19]
	s_add_co_u32 s12, s12, s18
	s_cselect_b32 s2, -1, 0
	s_delay_alu instid0(SALU_CYCLE_1) | instskip(SKIP_1) | instid1(SALU_CYCLE_1)
	s_cmp_lg_u32 s2, 0
	s_add_co_ci_u32 s13, s13, s19
	s_mul_u64 s[16:17], s[16:17], s[12:13]
	s_delay_alu instid0(SALU_CYCLE_1)
	s_mul_hi_u32 s19, s12, s17
	s_mul_i32 s18, s12, s17
	s_mul_hi_u32 s2, s12, s16
	s_mul_i32 s20, s13, s16
	s_add_nc_u64 s[18:19], s[2:3], s[18:19]
	s_mul_hi_u32 s15, s13, s16
	s_mul_hi_u32 s21, s13, s17
	s_add_co_u32 s2, s18, s20
	s_add_co_ci_u32 s2, s19, s15
	s_mul_i32 s16, s13, s17
	s_add_co_ci_u32 s17, s21, 0
	s_delay_alu instid0(SALU_CYCLE_1) | instskip(NEXT) | instid1(SALU_CYCLE_1)
	s_add_nc_u64 s[16:17], s[2:3], s[16:17]
	s_add_co_u32 s15, s12, s16
	s_cselect_b32 s2, -1, 0
	s_delay_alu instid0(SALU_CYCLE_1) | instskip(SKIP_2) | instid1(SALU_CYCLE_1)
	s_cmp_lg_u32 s2, 0
	s_add_co_ci_u32 s20, s13, s17
	s_ashr_i32 s12, s7, 31
	s_mov_b32 s13, s12
	s_delay_alu instid0(SALU_CYCLE_1) | instskip(NEXT) | instid1(SALU_CYCLE_1)
	s_add_nc_u64 s[16:17], s[6:7], s[12:13]
	s_xor_b64 s[16:17], s[16:17], s[12:13]
	s_delay_alu instid0(SALU_CYCLE_1)
	s_mul_hi_u32 s19, s16, s20
	s_mul_i32 s18, s16, s20
	s_mul_hi_u32 s2, s16, s15
	s_mul_hi_u32 s22, s17, s15
	s_mul_i32 s15, s17, s15
	s_add_nc_u64 s[18:19], s[2:3], s[18:19]
	s_mul_hi_u32 s21, s17, s20
	s_add_co_u32 s2, s18, s15
	s_add_co_ci_u32 s2, s19, s22
	s_mul_i32 s20, s17, s20
	s_add_co_ci_u32 s21, s21, 0
	s_delay_alu instid0(SALU_CYCLE_1) | instskip(NEXT) | instid1(SALU_CYCLE_1)
	s_add_nc_u64 s[18:19], s[2:3], s[20:21]
	s_and_b64 s[20:21], s[18:19], 0xffffffff00000000
	s_delay_alu instid0(SALU_CYCLE_1) | instskip(NEXT) | instid1(SALU_CYCLE_1)
	s_or_b32 s20, s20, s18
	s_mul_u64 s[18:19], s[10:11], s[20:21]
	s_delay_alu instid0(SALU_CYCLE_1)
	s_sub_co_u32 s2, s16, s18
	s_cselect_b32 s15, -1, 0
	s_sub_co_i32 s16, s17, s19
	s_cmp_lg_u32 s15, 0
	s_sub_co_ci_u32 s16, s16, s11
	s_sub_co_u32 s18, s2, s10
	s_cselect_b32 s22, -1, 0
	s_delay_alu instid0(SALU_CYCLE_1) | instskip(SKIP_2) | instid1(SALU_CYCLE_1)
	s_cmp_lg_u32 s22, 0
	s_add_nc_u64 s[22:23], s[20:21], 1
	s_sub_co_ci_u32 s16, s16, 0
	s_cmp_ge_u32 s16, s11
	s_cselect_b32 s24, -1, 0
	s_cmp_ge_u32 s18, s10
	s_cselect_b32 s18, -1, 0
	s_cmp_eq_u32 s16, s11
	s_cselect_b32 s16, s18, s24
	s_add_nc_u64 s[24:25], s[20:21], 2
	s_cmp_lg_u32 s16, 0
	s_cselect_b32 s16, s24, s22
	s_cselect_b32 s18, s25, s23
	s_cmp_lg_u32 s15, 0
	s_sub_co_ci_u32 s15, s17, s19
	s_delay_alu instid0(SALU_CYCLE_1)
	s_cmp_ge_u32 s15, s11
	s_cselect_b32 s17, -1, 0
	s_cmp_ge_u32 s2, s10
	s_cselect_b32 s2, -1, 0
	s_cmp_eq_u32 s15, s11
	s_cselect_b32 s2, s2, s17
	s_delay_alu instid0(SALU_CYCLE_1) | instskip(SKIP_3) | instid1(SALU_CYCLE_1)
	s_cmp_lg_u32 s2, 0
	s_cselect_b32 s11, s18, s21
	s_cselect_b32 s10, s16, s20
	s_xor_b64 s[8:9], s[12:13], s[8:9]
	s_xor_b64 s[10:11], s[10:11], s[8:9]
	s_delay_alu instid0(SALU_CYCLE_1)
	s_sub_nc_u64 s[12:13], s[10:11], s[8:9]
	s_load_b32 s2, s[0:1], 0xc4
	s_and_not1_b32 vcc_lo, exec_lo, s3
	s_cbranch_vccnz .LBB10_3
.LBB10_2:
	v_cvt_f32_u32_e32 v1, s4
	s_sub_co_i32 s8, 0, s4
	s_mov_b32 s13, 0
	s_delay_alu instid0(VALU_DEP_1) | instskip(SKIP_1) | instid1(TRANS32_DEP_1)
	v_rcp_iflag_f32_e32 v1, v1
	v_nop
	v_mul_f32_e32 v1, 0x4f7ffffe, v1
	s_delay_alu instid0(VALU_DEP_1) | instskip(NEXT) | instid1(VALU_DEP_1)
	v_cvt_u32_f32_e32 v1, v1
	v_readfirstlane_b32 s3, v1
	s_mul_i32 s8, s8, s3
	s_delay_alu instid0(SALU_CYCLE_1) | instskip(NEXT) | instid1(SALU_CYCLE_1)
	s_mul_hi_u32 s8, s3, s8
	s_add_co_i32 s3, s3, s8
	s_delay_alu instid0(SALU_CYCLE_1) | instskip(NEXT) | instid1(SALU_CYCLE_1)
	s_mul_hi_u32 s3, s6, s3
	s_mul_i32 s8, s3, s4
	s_add_co_i32 s9, s3, 1
	s_sub_co_i32 s8, s6, s8
	s_delay_alu instid0(SALU_CYCLE_1)
	s_sub_co_i32 s10, s8, s4
	s_cmp_ge_u32 s8, s4
	s_cselect_b32 s3, s9, s3
	s_cselect_b32 s8, s10, s8
	s_add_co_i32 s9, s3, 1
	s_cmp_ge_u32 s8, s4
	s_cselect_b32 s12, s9, s3
.LBB10_3:
	s_bfe_u32 s8, ttmp6, 0x40010
	s_and_b32 s15, ttmp7, 0xffff
	s_add_co_i32 s8, s8, 1
	s_bfe_u32 s17, ttmp6, 0x40004
	s_mul_i32 s16, s15, s8
	s_bfe_u32 s8, ttmp6, 0x4000c
	s_and_b32 s18, ttmp6, 15
	s_add_co_i32 s8, s8, 1
	s_wait_kmcnt 0x0
	s_lshr_b32 s3, s2, 16
	s_mul_i32 s19, ttmp9, s8
	s_load_b128 s[8:11], s[0:1], 0x18
	v_and_b32_e32 v2, 0x3ff, v0
	v_mov_b32_e32 v3, 0
	s_and_b32 s2, s2, 0xffff
	s_add_co_i32 s17, s17, s16
	s_add_co_i32 s18, s18, s19
	v_bfe_u32 v4, v0, 10, 10
	s_cmp_eq_u32 s14, 0
	s_cselect_b32 s14, ttmp9, s18
	s_cselect_b32 s15, s15, s17
	v_mad_nc_u64_u32 v[0:1], s2, s14, v[2:3]
	v_mad_u32 v2, s15, s3, v4
	s_wait_kmcnt 0x0
	s_delay_alu instid0(VALU_DEP_2) | instskip(NEXT) | instid1(VALU_DEP_2)
	v_cmp_gt_i64_e64 s2, s[10:11], v[0:1]
	v_cmp_gt_i64_e32 vcc_lo, s[8:9], v[2:3]
	s_and_b32 s2, vcc_lo, s2
	s_delay_alu instid0(SALU_CYCLE_1)
	s_and_saveexec_b32 s3, s2
	s_cbranch_execz .LBB10_7
; %bb.4:
	s_clause 0x1
	s_load_b256 s[16:23], s[0:1], 0x70
	s_load_b64 s[2:3], s[0:1], 0x48
	s_mul_u64 s[4:5], s[12:13], s[4:5]
	s_delay_alu instid0(SALU_CYCLE_1)
	s_sub_nc_u64 s[14:15], s[6:7], s[4:5]
	s_wait_kmcnt 0x0
	v_mul_u64_e32 v[4:5], s[20:21], v[2:3]
	v_mul_u64_e32 v[6:7], s[22:23], v[0:1]
	s_mul_u64 s[4:5], s[16:17], s[12:13]
	s_mul_u64 s[6:7], s[18:19], s[14:15]
	s_lshl_b64 s[4:5], s[4:5], 3
	s_lshl_b64 s[6:7], s[6:7], 3
	s_add_nc_u64 s[2:3], s[2:3], s[4:5]
	s_delay_alu instid0(SALU_CYCLE_1) | instskip(SKIP_1) | instid1(VALU_DEP_2)
	s_add_nc_u64 s[2:3], s[2:3], s[6:7]
	s_load_b256 s[4:11], s[0:1], 0x90
	v_lshl_add_u64 v[4:5], v[4:5], 3, s[2:3]
	s_wait_kmcnt 0x0
	s_mul_u64 s[2:3], s[8:9], s[6:7]
	s_delay_alu instid0(SALU_CYCLE_1) | instskip(NEXT) | instid1(VALU_DEP_1)
	s_mul_u64 s[6:7], s[2:3], s[10:11]
	v_lshl_add_u64 v[4:5], v[6:7], 3, v[4:5]
	global_load_b64 v[4:5], v[4:5], off
	s_wait_loadcnt 0x0
	v_cmp_lt_i64_e32 vcc_lo, -1, v[4:5]
	v_cmp_gt_i64_e64 s2, s[6:7], v[4:5]
	s_and_b32 s2, vcc_lo, s2
	s_delay_alu instid0(SALU_CYCLE_1) | instskip(NEXT) | instid1(SALU_CYCLE_1)
	s_and_saveexec_b32 s3, s2
	s_xor_b32 s2, exec_lo, s3
	s_cbranch_execz .LBB10_6
; %bb.5:
	s_clause 0x1
	s_load_b256 s[16:23], s[0:1], 0x28
	s_load_b64 s[8:9], s[0:1], 0x0
	s_wait_kmcnt 0x0
	s_mul_u64 s[0:1], s[16:17], s[12:13]
	s_delay_alu instid0(SALU_CYCLE_1) | instskip(SKIP_1) | instid1(SALU_CYCLE_1)
	s_add_nc_u64 s[0:1], s[8:9], s[0:1]
	s_mul_u64 s[8:9], s[18:19], s[14:15]
	s_add_nc_u64 s[0:1], s[0:1], s[8:9]
	s_delay_alu instid0(SALU_CYCLE_1) | instskip(SKIP_1) | instid1(SALU_CYCLE_1)
	v_mad_nc_u64_u32 v[6:7], s20, v2, s[0:1]
	s_mul_u64 s[0:1], s[6:7], s[12:13]
	s_add_nc_u64 s[0:1], s[4:5], s[0:1]
	s_delay_alu instid0(VALU_DEP_1) | instskip(NEXT) | instid1(VALU_DEP_1)
	v_mad_u32 v7, s21, v2, v7
	v_mad_nc_u64_u32 v[2:3], s22, v0, v[6:7]
	s_delay_alu instid0(VALU_DEP_1) | instskip(NEXT) | instid1(VALU_DEP_1)
	v_mad_u32 v0, s23, v0, v3
	v_mad_u32 v3, s22, v1, v0
	v_add_nc_u64_e32 v[0:1], s[0:1], v[4:5]
	global_load_u8 v2, v[2:3], off
	s_wait_loadcnt 0x0
	global_store_b8 v[0:1], v2, off
.LBB10_6:
	s_wait_xcnt 0x0
	s_and_not1_saveexec_b32 s0, s2
	s_cbranch_execnz .LBB10_9
.LBB10_7:
	s_endpgm
.LBB10_8:
                                        ; implicit-def: $sgpr12_sgpr13
	s_load_b32 s2, s[0:1], 0xc4
	s_branch .LBB10_2
.LBB10_9:
	s_trap 2
	; divergent unreachable
	s_endpgm
	.section	.rodata,"a",@progbits
	.p2align	6, 0x0
	.amdhsa_kernel _ZN2at6native30max_unpooling3d_forward_kernelIaEEvN5torch10headeronly6detail27GenericPackedTensorAccessorINS4_14TensorAccessorIN3c108ArrayRefIlEEKT_Lm3ENS3_16DefaultPtrTraitsElEENS_6detail16IndexBoundsCheckILm4ElEESB_Lm4ESC_lEENS5_INS6_IS9_KlLm3ESC_lEESG_SI_Lm4ESC_lEEPSA_llll
		.amdhsa_group_segment_fixed_size 0
		.amdhsa_private_segment_fixed_size 0
		.amdhsa_kernarg_size 440
		.amdhsa_user_sgpr_count 2
		.amdhsa_user_sgpr_dispatch_ptr 0
		.amdhsa_user_sgpr_queue_ptr 0
		.amdhsa_user_sgpr_kernarg_segment_ptr 1
		.amdhsa_user_sgpr_dispatch_id 0
		.amdhsa_user_sgpr_kernarg_preload_length 0
		.amdhsa_user_sgpr_kernarg_preload_offset 0
		.amdhsa_user_sgpr_private_segment_size 0
		.amdhsa_wavefront_size32 1
		.amdhsa_uses_dynamic_stack 0
		.amdhsa_enable_private_segment 0
		.amdhsa_system_sgpr_workgroup_id_x 1
		.amdhsa_system_sgpr_workgroup_id_y 1
		.amdhsa_system_sgpr_workgroup_id_z 1
		.amdhsa_system_sgpr_workgroup_info 0
		.amdhsa_system_vgpr_workitem_id 1
		.amdhsa_next_free_vgpr 8
		.amdhsa_next_free_sgpr 26
		.amdhsa_named_barrier_count 0
		.amdhsa_reserve_vcc 1
		.amdhsa_float_round_mode_32 0
		.amdhsa_float_round_mode_16_64 0
		.amdhsa_float_denorm_mode_32 3
		.amdhsa_float_denorm_mode_16_64 3
		.amdhsa_fp16_overflow 0
		.amdhsa_memory_ordered 1
		.amdhsa_forward_progress 1
		.amdhsa_inst_pref_size 10
		.amdhsa_round_robin_scheduling 0
		.amdhsa_exception_fp_ieee_invalid_op 0
		.amdhsa_exception_fp_denorm_src 0
		.amdhsa_exception_fp_ieee_div_zero 0
		.amdhsa_exception_fp_ieee_overflow 0
		.amdhsa_exception_fp_ieee_underflow 0
		.amdhsa_exception_fp_ieee_inexact 0
		.amdhsa_exception_int_div_zero 0
	.end_amdhsa_kernel
	.section	.text._ZN2at6native30max_unpooling3d_forward_kernelIaEEvN5torch10headeronly6detail27GenericPackedTensorAccessorINS4_14TensorAccessorIN3c108ArrayRefIlEEKT_Lm3ENS3_16DefaultPtrTraitsElEENS_6detail16IndexBoundsCheckILm4ElEESB_Lm4ESC_lEENS5_INS6_IS9_KlLm3ESC_lEESG_SI_Lm4ESC_lEEPSA_llll,"axG",@progbits,_ZN2at6native30max_unpooling3d_forward_kernelIaEEvN5torch10headeronly6detail27GenericPackedTensorAccessorINS4_14TensorAccessorIN3c108ArrayRefIlEEKT_Lm3ENS3_16DefaultPtrTraitsElEENS_6detail16IndexBoundsCheckILm4ElEESB_Lm4ESC_lEENS5_INS6_IS9_KlLm3ESC_lEESG_SI_Lm4ESC_lEEPSA_llll,comdat
.Lfunc_end10:
	.size	_ZN2at6native30max_unpooling3d_forward_kernelIaEEvN5torch10headeronly6detail27GenericPackedTensorAccessorINS4_14TensorAccessorIN3c108ArrayRefIlEEKT_Lm3ENS3_16DefaultPtrTraitsElEENS_6detail16IndexBoundsCheckILm4ElEESB_Lm4ESC_lEENS5_INS6_IS9_KlLm3ESC_lEESG_SI_Lm4ESC_lEEPSA_llll, .Lfunc_end10-_ZN2at6native30max_unpooling3d_forward_kernelIaEEvN5torch10headeronly6detail27GenericPackedTensorAccessorINS4_14TensorAccessorIN3c108ArrayRefIlEEKT_Lm3ENS3_16DefaultPtrTraitsElEENS_6detail16IndexBoundsCheckILm4ElEESB_Lm4ESC_lEENS5_INS6_IS9_KlLm3ESC_lEESG_SI_Lm4ESC_lEEPSA_llll
                                        ; -- End function
	.set _ZN2at6native30max_unpooling3d_forward_kernelIaEEvN5torch10headeronly6detail27GenericPackedTensorAccessorINS4_14TensorAccessorIN3c108ArrayRefIlEEKT_Lm3ENS3_16DefaultPtrTraitsElEENS_6detail16IndexBoundsCheckILm4ElEESB_Lm4ESC_lEENS5_INS6_IS9_KlLm3ESC_lEESG_SI_Lm4ESC_lEEPSA_llll.num_vgpr, 8
	.set _ZN2at6native30max_unpooling3d_forward_kernelIaEEvN5torch10headeronly6detail27GenericPackedTensorAccessorINS4_14TensorAccessorIN3c108ArrayRefIlEEKT_Lm3ENS3_16DefaultPtrTraitsElEENS_6detail16IndexBoundsCheckILm4ElEESB_Lm4ESC_lEENS5_INS6_IS9_KlLm3ESC_lEESG_SI_Lm4ESC_lEEPSA_llll.num_agpr, 0
	.set _ZN2at6native30max_unpooling3d_forward_kernelIaEEvN5torch10headeronly6detail27GenericPackedTensorAccessorINS4_14TensorAccessorIN3c108ArrayRefIlEEKT_Lm3ENS3_16DefaultPtrTraitsElEENS_6detail16IndexBoundsCheckILm4ElEESB_Lm4ESC_lEENS5_INS6_IS9_KlLm3ESC_lEESG_SI_Lm4ESC_lEEPSA_llll.numbered_sgpr, 26
	.set _ZN2at6native30max_unpooling3d_forward_kernelIaEEvN5torch10headeronly6detail27GenericPackedTensorAccessorINS4_14TensorAccessorIN3c108ArrayRefIlEEKT_Lm3ENS3_16DefaultPtrTraitsElEENS_6detail16IndexBoundsCheckILm4ElEESB_Lm4ESC_lEENS5_INS6_IS9_KlLm3ESC_lEESG_SI_Lm4ESC_lEEPSA_llll.num_named_barrier, 0
	.set _ZN2at6native30max_unpooling3d_forward_kernelIaEEvN5torch10headeronly6detail27GenericPackedTensorAccessorINS4_14TensorAccessorIN3c108ArrayRefIlEEKT_Lm3ENS3_16DefaultPtrTraitsElEENS_6detail16IndexBoundsCheckILm4ElEESB_Lm4ESC_lEENS5_INS6_IS9_KlLm3ESC_lEESG_SI_Lm4ESC_lEEPSA_llll.private_seg_size, 0
	.set _ZN2at6native30max_unpooling3d_forward_kernelIaEEvN5torch10headeronly6detail27GenericPackedTensorAccessorINS4_14TensorAccessorIN3c108ArrayRefIlEEKT_Lm3ENS3_16DefaultPtrTraitsElEENS_6detail16IndexBoundsCheckILm4ElEESB_Lm4ESC_lEENS5_INS6_IS9_KlLm3ESC_lEESG_SI_Lm4ESC_lEEPSA_llll.uses_vcc, 1
	.set _ZN2at6native30max_unpooling3d_forward_kernelIaEEvN5torch10headeronly6detail27GenericPackedTensorAccessorINS4_14TensorAccessorIN3c108ArrayRefIlEEKT_Lm3ENS3_16DefaultPtrTraitsElEENS_6detail16IndexBoundsCheckILm4ElEESB_Lm4ESC_lEENS5_INS6_IS9_KlLm3ESC_lEESG_SI_Lm4ESC_lEEPSA_llll.uses_flat_scratch, 0
	.set _ZN2at6native30max_unpooling3d_forward_kernelIaEEvN5torch10headeronly6detail27GenericPackedTensorAccessorINS4_14TensorAccessorIN3c108ArrayRefIlEEKT_Lm3ENS3_16DefaultPtrTraitsElEENS_6detail16IndexBoundsCheckILm4ElEESB_Lm4ESC_lEENS5_INS6_IS9_KlLm3ESC_lEESG_SI_Lm4ESC_lEEPSA_llll.has_dyn_sized_stack, 0
	.set _ZN2at6native30max_unpooling3d_forward_kernelIaEEvN5torch10headeronly6detail27GenericPackedTensorAccessorINS4_14TensorAccessorIN3c108ArrayRefIlEEKT_Lm3ENS3_16DefaultPtrTraitsElEENS_6detail16IndexBoundsCheckILm4ElEESB_Lm4ESC_lEENS5_INS6_IS9_KlLm3ESC_lEESG_SI_Lm4ESC_lEEPSA_llll.has_recursion, 0
	.set _ZN2at6native30max_unpooling3d_forward_kernelIaEEvN5torch10headeronly6detail27GenericPackedTensorAccessorINS4_14TensorAccessorIN3c108ArrayRefIlEEKT_Lm3ENS3_16DefaultPtrTraitsElEENS_6detail16IndexBoundsCheckILm4ElEESB_Lm4ESC_lEENS5_INS6_IS9_KlLm3ESC_lEESG_SI_Lm4ESC_lEEPSA_llll.has_indirect_call, 0
	.section	.AMDGPU.csdata,"",@progbits
; Kernel info:
; codeLenInByte = 1256
; TotalNumSgprs: 28
; NumVgprs: 8
; ScratchSize: 0
; MemoryBound: 0
; FloatMode: 240
; IeeeMode: 1
; LDSByteSize: 0 bytes/workgroup (compile time only)
; SGPRBlocks: 0
; VGPRBlocks: 0
; NumSGPRsForWavesPerEU: 28
; NumVGPRsForWavesPerEU: 8
; NamedBarCnt: 0
; Occupancy: 16
; WaveLimiterHint : 1
; COMPUTE_PGM_RSRC2:SCRATCH_EN: 0
; COMPUTE_PGM_RSRC2:USER_SGPR: 2
; COMPUTE_PGM_RSRC2:TRAP_HANDLER: 0
; COMPUTE_PGM_RSRC2:TGID_X_EN: 1
; COMPUTE_PGM_RSRC2:TGID_Y_EN: 1
; COMPUTE_PGM_RSRC2:TGID_Z_EN: 1
; COMPUTE_PGM_RSRC2:TIDIG_COMP_CNT: 1
	.section	.text._ZN2at6native30max_unpooling3d_forward_kernelIiEEvN5torch10headeronly6detail27GenericPackedTensorAccessorINS4_14TensorAccessorIN3c108ArrayRefIlEEKT_Lm3ENS3_16DefaultPtrTraitsElEENS_6detail16IndexBoundsCheckILm4ElEESB_Lm4ESC_lEENS5_INS6_IS9_KlLm3ESC_lEESG_SI_Lm4ESC_lEEPSA_llll,"axG",@progbits,_ZN2at6native30max_unpooling3d_forward_kernelIiEEvN5torch10headeronly6detail27GenericPackedTensorAccessorINS4_14TensorAccessorIN3c108ArrayRefIlEEKT_Lm3ENS3_16DefaultPtrTraitsElEENS_6detail16IndexBoundsCheckILm4ElEESB_Lm4ESC_lEENS5_INS6_IS9_KlLm3ESC_lEESG_SI_Lm4ESC_lEEPSA_llll,comdat
	.protected	_ZN2at6native30max_unpooling3d_forward_kernelIiEEvN5torch10headeronly6detail27GenericPackedTensorAccessorINS4_14TensorAccessorIN3c108ArrayRefIlEEKT_Lm3ENS3_16DefaultPtrTraitsElEENS_6detail16IndexBoundsCheckILm4ElEESB_Lm4ESC_lEENS5_INS6_IS9_KlLm3ESC_lEESG_SI_Lm4ESC_lEEPSA_llll ; -- Begin function _ZN2at6native30max_unpooling3d_forward_kernelIiEEvN5torch10headeronly6detail27GenericPackedTensorAccessorINS4_14TensorAccessorIN3c108ArrayRefIlEEKT_Lm3ENS3_16DefaultPtrTraitsElEENS_6detail16IndexBoundsCheckILm4ElEESB_Lm4ESC_lEENS5_INS6_IS9_KlLm3ESC_lEESG_SI_Lm4ESC_lEEPSA_llll
	.globl	_ZN2at6native30max_unpooling3d_forward_kernelIiEEvN5torch10headeronly6detail27GenericPackedTensorAccessorINS4_14TensorAccessorIN3c108ArrayRefIlEEKT_Lm3ENS3_16DefaultPtrTraitsElEENS_6detail16IndexBoundsCheckILm4ElEESB_Lm4ESC_lEENS5_INS6_IS9_KlLm3ESC_lEESG_SI_Lm4ESC_lEEPSA_llll
	.p2align	8
	.type	_ZN2at6native30max_unpooling3d_forward_kernelIiEEvN5torch10headeronly6detail27GenericPackedTensorAccessorINS4_14TensorAccessorIN3c108ArrayRefIlEEKT_Lm3ENS3_16DefaultPtrTraitsElEENS_6detail16IndexBoundsCheckILm4ElEESB_Lm4ESC_lEENS5_INS6_IS9_KlLm3ESC_lEESG_SI_Lm4ESC_lEEPSA_llll,@function
_ZN2at6native30max_unpooling3d_forward_kernelIiEEvN5torch10headeronly6detail27GenericPackedTensorAccessorINS4_14TensorAccessorIN3c108ArrayRefIlEEKT_Lm3ENS3_16DefaultPtrTraitsElEENS_6detail16IndexBoundsCheckILm4ElEESB_Lm4ESC_lEENS5_INS6_IS9_KlLm3ESC_lEESG_SI_Lm4ESC_lEEPSA_llll: ; @_ZN2at6native30max_unpooling3d_forward_kernelIiEEvN5torch10headeronly6detail27GenericPackedTensorAccessorINS4_14TensorAccessorIN3c108ArrayRefIlEEKT_Lm3ENS3_16DefaultPtrTraitsElEENS_6detail16IndexBoundsCheckILm4ElEESB_Lm4ESC_lEENS5_INS6_IS9_KlLm3ESC_lEESG_SI_Lm4ESC_lEEPSA_llll
; %bb.0:
	s_clause 0x1
	s_load_b64 s[6:7], s[0:1], 0xb0
	s_load_b64 s[4:5], s[0:1], 0x10
	s_bfe_u32 s2, ttmp6, 0x40014
	s_lshr_b32 s8, ttmp7, 16
	s_add_co_i32 s2, s2, 1
	s_bfe_u32 s3, ttmp6, 0x40008
	s_mul_i32 s2, s8, s2
	s_getreg_b32 s14, hwreg(HW_REG_IB_STS2, 6, 4)
	s_add_co_i32 s2, s3, s2
	s_cmp_eq_u32 s14, 0
	s_mov_b32 s3, 0
	s_cselect_b32 s2, s8, s2
	s_wait_kmcnt 0x0
	s_add_nc_u64 s[6:7], s[6:7], s[2:3]
	s_delay_alu instid0(SALU_CYCLE_1) | instskip(NEXT) | instid1(SALU_CYCLE_1)
	s_or_b64 s[8:9], s[6:7], s[4:5]
	s_and_b64 s[8:9], s[8:9], 0xffffffff00000000
	s_delay_alu instid0(SALU_CYCLE_1)
	s_cmp_lg_u64 s[8:9], 0
	s_cbranch_scc0 .LBB11_8
; %bb.1:
	s_ashr_i32 s8, s5, 31
	s_delay_alu instid0(SALU_CYCLE_1) | instskip(NEXT) | instid1(SALU_CYCLE_1)
	s_mov_b32 s9, s8
	s_add_nc_u64 s[10:11], s[4:5], s[8:9]
	s_delay_alu instid0(SALU_CYCLE_1) | instskip(NEXT) | instid1(SALU_CYCLE_1)
	s_xor_b64 s[10:11], s[10:11], s[8:9]
	s_cvt_f32_u32 s2, s10
	s_cvt_f32_u32 s12, s11
	s_sub_nc_u64 s[16:17], 0, s[10:11]
	s_delay_alu instid0(SALU_CYCLE_2) | instskip(NEXT) | instid1(SALU_CYCLE_3)
	s_fmamk_f32 s2, s12, 0x4f800000, s2
	v_s_rcp_f32 s2, s2
	s_delay_alu instid0(TRANS32_DEP_1) | instskip(NEXT) | instid1(SALU_CYCLE_3)
	s_mul_f32 s2, s2, 0x5f7ffffc
	s_mul_f32 s12, s2, 0x2f800000
	s_delay_alu instid0(SALU_CYCLE_3) | instskip(NEXT) | instid1(SALU_CYCLE_3)
	s_trunc_f32 s12, s12
	s_fmamk_f32 s2, s12, 0xcf800000, s2
	s_cvt_u32_f32 s13, s12
	s_delay_alu instid0(SALU_CYCLE_2) | instskip(NEXT) | instid1(SALU_CYCLE_3)
	s_cvt_u32_f32 s12, s2
	s_mul_u64 s[18:19], s[16:17], s[12:13]
	s_delay_alu instid0(SALU_CYCLE_1)
	s_mul_hi_u32 s21, s12, s19
	s_mul_i32 s20, s12, s19
	s_mul_hi_u32 s2, s12, s18
	s_mul_i32 s22, s13, s18
	s_add_nc_u64 s[20:21], s[2:3], s[20:21]
	s_mul_hi_u32 s15, s13, s18
	s_mul_hi_u32 s23, s13, s19
	s_add_co_u32 s2, s20, s22
	s_add_co_ci_u32 s2, s21, s15
	s_mul_i32 s18, s13, s19
	s_add_co_ci_u32 s19, s23, 0
	s_delay_alu instid0(SALU_CYCLE_1) | instskip(NEXT) | instid1(SALU_CYCLE_1)
	s_add_nc_u64 s[18:19], s[2:3], s[18:19]
	s_add_co_u32 s12, s12, s18
	s_cselect_b32 s2, -1, 0
	s_delay_alu instid0(SALU_CYCLE_1) | instskip(SKIP_1) | instid1(SALU_CYCLE_1)
	s_cmp_lg_u32 s2, 0
	s_add_co_ci_u32 s13, s13, s19
	s_mul_u64 s[16:17], s[16:17], s[12:13]
	s_delay_alu instid0(SALU_CYCLE_1)
	s_mul_hi_u32 s19, s12, s17
	s_mul_i32 s18, s12, s17
	s_mul_hi_u32 s2, s12, s16
	s_mul_i32 s20, s13, s16
	s_add_nc_u64 s[18:19], s[2:3], s[18:19]
	s_mul_hi_u32 s15, s13, s16
	s_mul_hi_u32 s21, s13, s17
	s_add_co_u32 s2, s18, s20
	s_add_co_ci_u32 s2, s19, s15
	s_mul_i32 s16, s13, s17
	s_add_co_ci_u32 s17, s21, 0
	s_delay_alu instid0(SALU_CYCLE_1) | instskip(NEXT) | instid1(SALU_CYCLE_1)
	s_add_nc_u64 s[16:17], s[2:3], s[16:17]
	s_add_co_u32 s15, s12, s16
	s_cselect_b32 s2, -1, 0
	s_delay_alu instid0(SALU_CYCLE_1) | instskip(SKIP_2) | instid1(SALU_CYCLE_1)
	s_cmp_lg_u32 s2, 0
	s_add_co_ci_u32 s20, s13, s17
	s_ashr_i32 s12, s7, 31
	s_mov_b32 s13, s12
	s_delay_alu instid0(SALU_CYCLE_1) | instskip(NEXT) | instid1(SALU_CYCLE_1)
	s_add_nc_u64 s[16:17], s[6:7], s[12:13]
	s_xor_b64 s[16:17], s[16:17], s[12:13]
	s_delay_alu instid0(SALU_CYCLE_1)
	s_mul_hi_u32 s19, s16, s20
	s_mul_i32 s18, s16, s20
	s_mul_hi_u32 s2, s16, s15
	s_mul_hi_u32 s22, s17, s15
	s_mul_i32 s15, s17, s15
	s_add_nc_u64 s[18:19], s[2:3], s[18:19]
	s_mul_hi_u32 s21, s17, s20
	s_add_co_u32 s2, s18, s15
	s_add_co_ci_u32 s2, s19, s22
	s_mul_i32 s20, s17, s20
	s_add_co_ci_u32 s21, s21, 0
	s_delay_alu instid0(SALU_CYCLE_1) | instskip(NEXT) | instid1(SALU_CYCLE_1)
	s_add_nc_u64 s[18:19], s[2:3], s[20:21]
	s_and_b64 s[20:21], s[18:19], 0xffffffff00000000
	s_delay_alu instid0(SALU_CYCLE_1) | instskip(NEXT) | instid1(SALU_CYCLE_1)
	s_or_b32 s20, s20, s18
	s_mul_u64 s[18:19], s[10:11], s[20:21]
	s_delay_alu instid0(SALU_CYCLE_1)
	s_sub_co_u32 s2, s16, s18
	s_cselect_b32 s15, -1, 0
	s_sub_co_i32 s16, s17, s19
	s_cmp_lg_u32 s15, 0
	s_sub_co_ci_u32 s16, s16, s11
	s_sub_co_u32 s18, s2, s10
	s_cselect_b32 s22, -1, 0
	s_delay_alu instid0(SALU_CYCLE_1) | instskip(SKIP_2) | instid1(SALU_CYCLE_1)
	s_cmp_lg_u32 s22, 0
	s_add_nc_u64 s[22:23], s[20:21], 1
	s_sub_co_ci_u32 s16, s16, 0
	s_cmp_ge_u32 s16, s11
	s_cselect_b32 s24, -1, 0
	s_cmp_ge_u32 s18, s10
	s_cselect_b32 s18, -1, 0
	s_cmp_eq_u32 s16, s11
	s_cselect_b32 s16, s18, s24
	s_add_nc_u64 s[24:25], s[20:21], 2
	s_cmp_lg_u32 s16, 0
	s_cselect_b32 s16, s24, s22
	s_cselect_b32 s18, s25, s23
	s_cmp_lg_u32 s15, 0
	s_sub_co_ci_u32 s15, s17, s19
	s_delay_alu instid0(SALU_CYCLE_1)
	s_cmp_ge_u32 s15, s11
	s_cselect_b32 s17, -1, 0
	s_cmp_ge_u32 s2, s10
	s_cselect_b32 s2, -1, 0
	s_cmp_eq_u32 s15, s11
	s_cselect_b32 s2, s2, s17
	s_delay_alu instid0(SALU_CYCLE_1) | instskip(SKIP_3) | instid1(SALU_CYCLE_1)
	s_cmp_lg_u32 s2, 0
	s_cselect_b32 s11, s18, s21
	s_cselect_b32 s10, s16, s20
	s_xor_b64 s[8:9], s[12:13], s[8:9]
	s_xor_b64 s[10:11], s[10:11], s[8:9]
	s_delay_alu instid0(SALU_CYCLE_1)
	s_sub_nc_u64 s[12:13], s[10:11], s[8:9]
	s_load_b32 s2, s[0:1], 0xc4
	s_and_not1_b32 vcc_lo, exec_lo, s3
	s_cbranch_vccnz .LBB11_3
.LBB11_2:
	v_cvt_f32_u32_e32 v1, s4
	s_sub_co_i32 s8, 0, s4
	s_mov_b32 s13, 0
	s_delay_alu instid0(VALU_DEP_1) | instskip(SKIP_1) | instid1(TRANS32_DEP_1)
	v_rcp_iflag_f32_e32 v1, v1
	v_nop
	v_mul_f32_e32 v1, 0x4f7ffffe, v1
	s_delay_alu instid0(VALU_DEP_1) | instskip(NEXT) | instid1(VALU_DEP_1)
	v_cvt_u32_f32_e32 v1, v1
	v_readfirstlane_b32 s3, v1
	s_mul_i32 s8, s8, s3
	s_delay_alu instid0(SALU_CYCLE_1) | instskip(NEXT) | instid1(SALU_CYCLE_1)
	s_mul_hi_u32 s8, s3, s8
	s_add_co_i32 s3, s3, s8
	s_delay_alu instid0(SALU_CYCLE_1) | instskip(NEXT) | instid1(SALU_CYCLE_1)
	s_mul_hi_u32 s3, s6, s3
	s_mul_i32 s8, s3, s4
	s_add_co_i32 s9, s3, 1
	s_sub_co_i32 s8, s6, s8
	s_delay_alu instid0(SALU_CYCLE_1)
	s_sub_co_i32 s10, s8, s4
	s_cmp_ge_u32 s8, s4
	s_cselect_b32 s3, s9, s3
	s_cselect_b32 s8, s10, s8
	s_add_co_i32 s9, s3, 1
	s_cmp_ge_u32 s8, s4
	s_cselect_b32 s12, s9, s3
.LBB11_3:
	s_bfe_u32 s8, ttmp6, 0x40010
	s_and_b32 s15, ttmp7, 0xffff
	s_add_co_i32 s8, s8, 1
	s_bfe_u32 s17, ttmp6, 0x40004
	s_mul_i32 s16, s15, s8
	s_bfe_u32 s8, ttmp6, 0x4000c
	s_and_b32 s18, ttmp6, 15
	s_add_co_i32 s8, s8, 1
	s_wait_kmcnt 0x0
	s_lshr_b32 s3, s2, 16
	s_mul_i32 s19, ttmp9, s8
	s_load_b128 s[8:11], s[0:1], 0x18
	v_and_b32_e32 v2, 0x3ff, v0
	v_mov_b32_e32 v3, 0
	s_and_b32 s2, s2, 0xffff
	s_add_co_i32 s17, s17, s16
	s_add_co_i32 s18, s18, s19
	v_bfe_u32 v4, v0, 10, 10
	s_cmp_eq_u32 s14, 0
	s_cselect_b32 s14, ttmp9, s18
	s_cselect_b32 s15, s15, s17
	v_mad_nc_u64_u32 v[0:1], s2, s14, v[2:3]
	v_mad_u32 v2, s15, s3, v4
	s_wait_kmcnt 0x0
	s_delay_alu instid0(VALU_DEP_2) | instskip(NEXT) | instid1(VALU_DEP_2)
	v_cmp_gt_i64_e64 s2, s[10:11], v[0:1]
	v_cmp_gt_i64_e32 vcc_lo, s[8:9], v[2:3]
	s_and_b32 s2, vcc_lo, s2
	s_delay_alu instid0(SALU_CYCLE_1)
	s_and_saveexec_b32 s3, s2
	s_cbranch_execz .LBB11_7
; %bb.4:
	s_clause 0x1
	s_load_b256 s[16:23], s[0:1], 0x70
	s_load_b64 s[2:3], s[0:1], 0x48
	s_mul_u64 s[4:5], s[12:13], s[4:5]
	s_delay_alu instid0(SALU_CYCLE_1)
	s_sub_nc_u64 s[14:15], s[6:7], s[4:5]
	s_wait_kmcnt 0x0
	v_mul_u64_e32 v[4:5], s[20:21], v[2:3]
	v_mul_u64_e32 v[6:7], s[22:23], v[0:1]
	s_mul_u64 s[4:5], s[16:17], s[12:13]
	s_mul_u64 s[6:7], s[18:19], s[14:15]
	s_lshl_b64 s[4:5], s[4:5], 3
	s_lshl_b64 s[6:7], s[6:7], 3
	s_add_nc_u64 s[2:3], s[2:3], s[4:5]
	s_delay_alu instid0(SALU_CYCLE_1) | instskip(SKIP_1) | instid1(VALU_DEP_2)
	s_add_nc_u64 s[2:3], s[2:3], s[6:7]
	s_load_b256 s[4:11], s[0:1], 0x90
	v_lshl_add_u64 v[4:5], v[4:5], 3, s[2:3]
	s_wait_kmcnt 0x0
	s_mul_u64 s[2:3], s[8:9], s[6:7]
	s_delay_alu instid0(SALU_CYCLE_1) | instskip(NEXT) | instid1(VALU_DEP_1)
	s_mul_u64 s[6:7], s[2:3], s[10:11]
	v_lshl_add_u64 v[4:5], v[6:7], 3, v[4:5]
	global_load_b64 v[4:5], v[4:5], off
	s_wait_loadcnt 0x0
	v_cmp_lt_i64_e32 vcc_lo, -1, v[4:5]
	v_cmp_gt_i64_e64 s2, s[6:7], v[4:5]
	s_and_b32 s2, vcc_lo, s2
	s_delay_alu instid0(SALU_CYCLE_1) | instskip(NEXT) | instid1(SALU_CYCLE_1)
	s_and_saveexec_b32 s3, s2
	s_xor_b32 s2, exec_lo, s3
	s_cbranch_execz .LBB11_6
; %bb.5:
	s_load_b256 s[16:23], s[0:1], 0x28
	s_wait_kmcnt 0x0
	v_mul_u64_e32 v[2:3], s[20:21], v[2:3]
	v_mul_u64_e32 v[0:1], s[22:23], v[0:1]
	s_load_b64 s[0:1], s[0:1], 0x0
	s_mul_u64 s[8:9], s[16:17], s[12:13]
	s_mul_u64 s[10:11], s[18:19], s[14:15]
	s_lshl_b64 s[8:9], s[8:9], 2
	s_wait_kmcnt 0x0
	s_add_nc_u64 s[0:1], s[0:1], s[8:9]
	s_lshl_b64 s[8:9], s[10:11], 2
	s_delay_alu instid0(SALU_CYCLE_1)
	s_add_nc_u64 s[0:1], s[0:1], s[8:9]
	s_delay_alu instid0(VALU_DEP_2) | instid1(SALU_CYCLE_1)
	v_lshl_add_u64 v[2:3], v[2:3], 2, s[0:1]
	s_mul_u64 s[0:1], s[6:7], s[12:13]
	s_delay_alu instid0(SALU_CYCLE_1) | instskip(NEXT) | instid1(SALU_CYCLE_1)
	s_lshl_b64 s[0:1], s[0:1], 2
	s_add_nc_u64 s[0:1], s[4:5], s[0:1]
	s_delay_alu instid0(VALU_DEP_1)
	v_lshl_add_u64 v[0:1], v[0:1], 2, v[2:3]
	global_load_b32 v2, v[0:1], off
	s_wait_xcnt 0x0
	v_lshl_add_u64 v[0:1], v[4:5], 2, s[0:1]
	s_wait_loadcnt 0x0
	global_store_b32 v[0:1], v2, off
.LBB11_6:
	s_wait_xcnt 0x0
	s_and_not1_saveexec_b32 s0, s2
	s_cbranch_execnz .LBB11_9
.LBB11_7:
	s_endpgm
.LBB11_8:
                                        ; implicit-def: $sgpr12_sgpr13
	s_load_b32 s2, s[0:1], 0xc4
	s_branch .LBB11_2
.LBB11_9:
	s_trap 2
	; divergent unreachable
	s_endpgm
	.section	.rodata,"a",@progbits
	.p2align	6, 0x0
	.amdhsa_kernel _ZN2at6native30max_unpooling3d_forward_kernelIiEEvN5torch10headeronly6detail27GenericPackedTensorAccessorINS4_14TensorAccessorIN3c108ArrayRefIlEEKT_Lm3ENS3_16DefaultPtrTraitsElEENS_6detail16IndexBoundsCheckILm4ElEESB_Lm4ESC_lEENS5_INS6_IS9_KlLm3ESC_lEESG_SI_Lm4ESC_lEEPSA_llll
		.amdhsa_group_segment_fixed_size 0
		.amdhsa_private_segment_fixed_size 0
		.amdhsa_kernarg_size 440
		.amdhsa_user_sgpr_count 2
		.amdhsa_user_sgpr_dispatch_ptr 0
		.amdhsa_user_sgpr_queue_ptr 0
		.amdhsa_user_sgpr_kernarg_segment_ptr 1
		.amdhsa_user_sgpr_dispatch_id 0
		.amdhsa_user_sgpr_kernarg_preload_length 0
		.amdhsa_user_sgpr_kernarg_preload_offset 0
		.amdhsa_user_sgpr_private_segment_size 0
		.amdhsa_wavefront_size32 1
		.amdhsa_uses_dynamic_stack 0
		.amdhsa_enable_private_segment 0
		.amdhsa_system_sgpr_workgroup_id_x 1
		.amdhsa_system_sgpr_workgroup_id_y 1
		.amdhsa_system_sgpr_workgroup_id_z 1
		.amdhsa_system_sgpr_workgroup_info 0
		.amdhsa_system_vgpr_workitem_id 1
		.amdhsa_next_free_vgpr 8
		.amdhsa_next_free_sgpr 26
		.amdhsa_named_barrier_count 0
		.amdhsa_reserve_vcc 1
		.amdhsa_float_round_mode_32 0
		.amdhsa_float_round_mode_16_64 0
		.amdhsa_float_denorm_mode_32 3
		.amdhsa_float_denorm_mode_16_64 3
		.amdhsa_fp16_overflow 0
		.amdhsa_memory_ordered 1
		.amdhsa_forward_progress 1
		.amdhsa_inst_pref_size 10
		.amdhsa_round_robin_scheduling 0
		.amdhsa_exception_fp_ieee_invalid_op 0
		.amdhsa_exception_fp_denorm_src 0
		.amdhsa_exception_fp_ieee_div_zero 0
		.amdhsa_exception_fp_ieee_overflow 0
		.amdhsa_exception_fp_ieee_underflow 0
		.amdhsa_exception_fp_ieee_inexact 0
		.amdhsa_exception_int_div_zero 0
	.end_amdhsa_kernel
	.section	.text._ZN2at6native30max_unpooling3d_forward_kernelIiEEvN5torch10headeronly6detail27GenericPackedTensorAccessorINS4_14TensorAccessorIN3c108ArrayRefIlEEKT_Lm3ENS3_16DefaultPtrTraitsElEENS_6detail16IndexBoundsCheckILm4ElEESB_Lm4ESC_lEENS5_INS6_IS9_KlLm3ESC_lEESG_SI_Lm4ESC_lEEPSA_llll,"axG",@progbits,_ZN2at6native30max_unpooling3d_forward_kernelIiEEvN5torch10headeronly6detail27GenericPackedTensorAccessorINS4_14TensorAccessorIN3c108ArrayRefIlEEKT_Lm3ENS3_16DefaultPtrTraitsElEENS_6detail16IndexBoundsCheckILm4ElEESB_Lm4ESC_lEENS5_INS6_IS9_KlLm3ESC_lEESG_SI_Lm4ESC_lEEPSA_llll,comdat
.Lfunc_end11:
	.size	_ZN2at6native30max_unpooling3d_forward_kernelIiEEvN5torch10headeronly6detail27GenericPackedTensorAccessorINS4_14TensorAccessorIN3c108ArrayRefIlEEKT_Lm3ENS3_16DefaultPtrTraitsElEENS_6detail16IndexBoundsCheckILm4ElEESB_Lm4ESC_lEENS5_INS6_IS9_KlLm3ESC_lEESG_SI_Lm4ESC_lEEPSA_llll, .Lfunc_end11-_ZN2at6native30max_unpooling3d_forward_kernelIiEEvN5torch10headeronly6detail27GenericPackedTensorAccessorINS4_14TensorAccessorIN3c108ArrayRefIlEEKT_Lm3ENS3_16DefaultPtrTraitsElEENS_6detail16IndexBoundsCheckILm4ElEESB_Lm4ESC_lEENS5_INS6_IS9_KlLm3ESC_lEESG_SI_Lm4ESC_lEEPSA_llll
                                        ; -- End function
	.set _ZN2at6native30max_unpooling3d_forward_kernelIiEEvN5torch10headeronly6detail27GenericPackedTensorAccessorINS4_14TensorAccessorIN3c108ArrayRefIlEEKT_Lm3ENS3_16DefaultPtrTraitsElEENS_6detail16IndexBoundsCheckILm4ElEESB_Lm4ESC_lEENS5_INS6_IS9_KlLm3ESC_lEESG_SI_Lm4ESC_lEEPSA_llll.num_vgpr, 8
	.set _ZN2at6native30max_unpooling3d_forward_kernelIiEEvN5torch10headeronly6detail27GenericPackedTensorAccessorINS4_14TensorAccessorIN3c108ArrayRefIlEEKT_Lm3ENS3_16DefaultPtrTraitsElEENS_6detail16IndexBoundsCheckILm4ElEESB_Lm4ESC_lEENS5_INS6_IS9_KlLm3ESC_lEESG_SI_Lm4ESC_lEEPSA_llll.num_agpr, 0
	.set _ZN2at6native30max_unpooling3d_forward_kernelIiEEvN5torch10headeronly6detail27GenericPackedTensorAccessorINS4_14TensorAccessorIN3c108ArrayRefIlEEKT_Lm3ENS3_16DefaultPtrTraitsElEENS_6detail16IndexBoundsCheckILm4ElEESB_Lm4ESC_lEENS5_INS6_IS9_KlLm3ESC_lEESG_SI_Lm4ESC_lEEPSA_llll.numbered_sgpr, 26
	.set _ZN2at6native30max_unpooling3d_forward_kernelIiEEvN5torch10headeronly6detail27GenericPackedTensorAccessorINS4_14TensorAccessorIN3c108ArrayRefIlEEKT_Lm3ENS3_16DefaultPtrTraitsElEENS_6detail16IndexBoundsCheckILm4ElEESB_Lm4ESC_lEENS5_INS6_IS9_KlLm3ESC_lEESG_SI_Lm4ESC_lEEPSA_llll.num_named_barrier, 0
	.set _ZN2at6native30max_unpooling3d_forward_kernelIiEEvN5torch10headeronly6detail27GenericPackedTensorAccessorINS4_14TensorAccessorIN3c108ArrayRefIlEEKT_Lm3ENS3_16DefaultPtrTraitsElEENS_6detail16IndexBoundsCheckILm4ElEESB_Lm4ESC_lEENS5_INS6_IS9_KlLm3ESC_lEESG_SI_Lm4ESC_lEEPSA_llll.private_seg_size, 0
	.set _ZN2at6native30max_unpooling3d_forward_kernelIiEEvN5torch10headeronly6detail27GenericPackedTensorAccessorINS4_14TensorAccessorIN3c108ArrayRefIlEEKT_Lm3ENS3_16DefaultPtrTraitsElEENS_6detail16IndexBoundsCheckILm4ElEESB_Lm4ESC_lEENS5_INS6_IS9_KlLm3ESC_lEESG_SI_Lm4ESC_lEEPSA_llll.uses_vcc, 1
	.set _ZN2at6native30max_unpooling3d_forward_kernelIiEEvN5torch10headeronly6detail27GenericPackedTensorAccessorINS4_14TensorAccessorIN3c108ArrayRefIlEEKT_Lm3ENS3_16DefaultPtrTraitsElEENS_6detail16IndexBoundsCheckILm4ElEESB_Lm4ESC_lEENS5_INS6_IS9_KlLm3ESC_lEESG_SI_Lm4ESC_lEEPSA_llll.uses_flat_scratch, 0
	.set _ZN2at6native30max_unpooling3d_forward_kernelIiEEvN5torch10headeronly6detail27GenericPackedTensorAccessorINS4_14TensorAccessorIN3c108ArrayRefIlEEKT_Lm3ENS3_16DefaultPtrTraitsElEENS_6detail16IndexBoundsCheckILm4ElEESB_Lm4ESC_lEENS5_INS6_IS9_KlLm3ESC_lEESG_SI_Lm4ESC_lEEPSA_llll.has_dyn_sized_stack, 0
	.set _ZN2at6native30max_unpooling3d_forward_kernelIiEEvN5torch10headeronly6detail27GenericPackedTensorAccessorINS4_14TensorAccessorIN3c108ArrayRefIlEEKT_Lm3ENS3_16DefaultPtrTraitsElEENS_6detail16IndexBoundsCheckILm4ElEESB_Lm4ESC_lEENS5_INS6_IS9_KlLm3ESC_lEESG_SI_Lm4ESC_lEEPSA_llll.has_recursion, 0
	.set _ZN2at6native30max_unpooling3d_forward_kernelIiEEvN5torch10headeronly6detail27GenericPackedTensorAccessorINS4_14TensorAccessorIN3c108ArrayRefIlEEKT_Lm3ENS3_16DefaultPtrTraitsElEENS_6detail16IndexBoundsCheckILm4ElEESB_Lm4ESC_lEENS5_INS6_IS9_KlLm3ESC_lEESG_SI_Lm4ESC_lEEPSA_llll.has_indirect_call, 0
	.section	.AMDGPU.csdata,"",@progbits
; Kernel info:
; codeLenInByte = 1260
; TotalNumSgprs: 28
; NumVgprs: 8
; ScratchSize: 0
; MemoryBound: 0
; FloatMode: 240
; IeeeMode: 1
; LDSByteSize: 0 bytes/workgroup (compile time only)
; SGPRBlocks: 0
; VGPRBlocks: 0
; NumSGPRsForWavesPerEU: 28
; NumVGPRsForWavesPerEU: 8
; NamedBarCnt: 0
; Occupancy: 16
; WaveLimiterHint : 1
; COMPUTE_PGM_RSRC2:SCRATCH_EN: 0
; COMPUTE_PGM_RSRC2:USER_SGPR: 2
; COMPUTE_PGM_RSRC2:TRAP_HANDLER: 0
; COMPUTE_PGM_RSRC2:TGID_X_EN: 1
; COMPUTE_PGM_RSRC2:TGID_Y_EN: 1
; COMPUTE_PGM_RSRC2:TGID_Z_EN: 1
; COMPUTE_PGM_RSRC2:TIDIG_COMP_CNT: 1
	.section	.text._ZN2at6native30max_unpooling3d_forward_kernelIlEEvN5torch10headeronly6detail27GenericPackedTensorAccessorINS4_14TensorAccessorIN3c108ArrayRefIlEEKT_Lm3ENS3_16DefaultPtrTraitsElEENS_6detail16IndexBoundsCheckILm4ElEESB_Lm4ESC_lEENS5_INS6_IS9_KlLm3ESC_lEESG_SI_Lm4ESC_lEEPSA_llll,"axG",@progbits,_ZN2at6native30max_unpooling3d_forward_kernelIlEEvN5torch10headeronly6detail27GenericPackedTensorAccessorINS4_14TensorAccessorIN3c108ArrayRefIlEEKT_Lm3ENS3_16DefaultPtrTraitsElEENS_6detail16IndexBoundsCheckILm4ElEESB_Lm4ESC_lEENS5_INS6_IS9_KlLm3ESC_lEESG_SI_Lm4ESC_lEEPSA_llll,comdat
	.protected	_ZN2at6native30max_unpooling3d_forward_kernelIlEEvN5torch10headeronly6detail27GenericPackedTensorAccessorINS4_14TensorAccessorIN3c108ArrayRefIlEEKT_Lm3ENS3_16DefaultPtrTraitsElEENS_6detail16IndexBoundsCheckILm4ElEESB_Lm4ESC_lEENS5_INS6_IS9_KlLm3ESC_lEESG_SI_Lm4ESC_lEEPSA_llll ; -- Begin function _ZN2at6native30max_unpooling3d_forward_kernelIlEEvN5torch10headeronly6detail27GenericPackedTensorAccessorINS4_14TensorAccessorIN3c108ArrayRefIlEEKT_Lm3ENS3_16DefaultPtrTraitsElEENS_6detail16IndexBoundsCheckILm4ElEESB_Lm4ESC_lEENS5_INS6_IS9_KlLm3ESC_lEESG_SI_Lm4ESC_lEEPSA_llll
	.globl	_ZN2at6native30max_unpooling3d_forward_kernelIlEEvN5torch10headeronly6detail27GenericPackedTensorAccessorINS4_14TensorAccessorIN3c108ArrayRefIlEEKT_Lm3ENS3_16DefaultPtrTraitsElEENS_6detail16IndexBoundsCheckILm4ElEESB_Lm4ESC_lEENS5_INS6_IS9_KlLm3ESC_lEESG_SI_Lm4ESC_lEEPSA_llll
	.p2align	8
	.type	_ZN2at6native30max_unpooling3d_forward_kernelIlEEvN5torch10headeronly6detail27GenericPackedTensorAccessorINS4_14TensorAccessorIN3c108ArrayRefIlEEKT_Lm3ENS3_16DefaultPtrTraitsElEENS_6detail16IndexBoundsCheckILm4ElEESB_Lm4ESC_lEENS5_INS6_IS9_KlLm3ESC_lEESG_SI_Lm4ESC_lEEPSA_llll,@function
_ZN2at6native30max_unpooling3d_forward_kernelIlEEvN5torch10headeronly6detail27GenericPackedTensorAccessorINS4_14TensorAccessorIN3c108ArrayRefIlEEKT_Lm3ENS3_16DefaultPtrTraitsElEENS_6detail16IndexBoundsCheckILm4ElEESB_Lm4ESC_lEENS5_INS6_IS9_KlLm3ESC_lEESG_SI_Lm4ESC_lEEPSA_llll: ; @_ZN2at6native30max_unpooling3d_forward_kernelIlEEvN5torch10headeronly6detail27GenericPackedTensorAccessorINS4_14TensorAccessorIN3c108ArrayRefIlEEKT_Lm3ENS3_16DefaultPtrTraitsElEENS_6detail16IndexBoundsCheckILm4ElEESB_Lm4ESC_lEENS5_INS6_IS9_KlLm3ESC_lEESG_SI_Lm4ESC_lEEPSA_llll
; %bb.0:
	s_clause 0x1
	s_load_b64 s[6:7], s[0:1], 0xb0
	s_load_b64 s[4:5], s[0:1], 0x10
	s_bfe_u32 s2, ttmp6, 0x40014
	s_lshr_b32 s8, ttmp7, 16
	s_add_co_i32 s2, s2, 1
	s_bfe_u32 s3, ttmp6, 0x40008
	s_mul_i32 s2, s8, s2
	s_getreg_b32 s14, hwreg(HW_REG_IB_STS2, 6, 4)
	s_add_co_i32 s2, s3, s2
	s_cmp_eq_u32 s14, 0
	s_mov_b32 s3, 0
	s_cselect_b32 s2, s8, s2
	s_wait_kmcnt 0x0
	s_add_nc_u64 s[6:7], s[6:7], s[2:3]
	s_delay_alu instid0(SALU_CYCLE_1) | instskip(NEXT) | instid1(SALU_CYCLE_1)
	s_or_b64 s[8:9], s[6:7], s[4:5]
	s_and_b64 s[8:9], s[8:9], 0xffffffff00000000
	s_delay_alu instid0(SALU_CYCLE_1)
	s_cmp_lg_u64 s[8:9], 0
	s_cbranch_scc0 .LBB12_8
; %bb.1:
	s_ashr_i32 s8, s5, 31
	s_delay_alu instid0(SALU_CYCLE_1) | instskip(NEXT) | instid1(SALU_CYCLE_1)
	s_mov_b32 s9, s8
	s_add_nc_u64 s[10:11], s[4:5], s[8:9]
	s_delay_alu instid0(SALU_CYCLE_1) | instskip(NEXT) | instid1(SALU_CYCLE_1)
	s_xor_b64 s[10:11], s[10:11], s[8:9]
	s_cvt_f32_u32 s2, s10
	s_cvt_f32_u32 s12, s11
	s_sub_nc_u64 s[16:17], 0, s[10:11]
	s_delay_alu instid0(SALU_CYCLE_2) | instskip(NEXT) | instid1(SALU_CYCLE_3)
	s_fmamk_f32 s2, s12, 0x4f800000, s2
	v_s_rcp_f32 s2, s2
	s_delay_alu instid0(TRANS32_DEP_1) | instskip(NEXT) | instid1(SALU_CYCLE_3)
	s_mul_f32 s2, s2, 0x5f7ffffc
	s_mul_f32 s12, s2, 0x2f800000
	s_delay_alu instid0(SALU_CYCLE_3) | instskip(NEXT) | instid1(SALU_CYCLE_3)
	s_trunc_f32 s12, s12
	s_fmamk_f32 s2, s12, 0xcf800000, s2
	s_cvt_u32_f32 s13, s12
	s_delay_alu instid0(SALU_CYCLE_2) | instskip(NEXT) | instid1(SALU_CYCLE_3)
	s_cvt_u32_f32 s12, s2
	s_mul_u64 s[18:19], s[16:17], s[12:13]
	s_delay_alu instid0(SALU_CYCLE_1)
	s_mul_hi_u32 s21, s12, s19
	s_mul_i32 s20, s12, s19
	s_mul_hi_u32 s2, s12, s18
	s_mul_i32 s22, s13, s18
	s_add_nc_u64 s[20:21], s[2:3], s[20:21]
	s_mul_hi_u32 s15, s13, s18
	s_mul_hi_u32 s23, s13, s19
	s_add_co_u32 s2, s20, s22
	s_add_co_ci_u32 s2, s21, s15
	s_mul_i32 s18, s13, s19
	s_add_co_ci_u32 s19, s23, 0
	s_delay_alu instid0(SALU_CYCLE_1) | instskip(NEXT) | instid1(SALU_CYCLE_1)
	s_add_nc_u64 s[18:19], s[2:3], s[18:19]
	s_add_co_u32 s12, s12, s18
	s_cselect_b32 s2, -1, 0
	s_delay_alu instid0(SALU_CYCLE_1) | instskip(SKIP_1) | instid1(SALU_CYCLE_1)
	s_cmp_lg_u32 s2, 0
	s_add_co_ci_u32 s13, s13, s19
	s_mul_u64 s[16:17], s[16:17], s[12:13]
	s_delay_alu instid0(SALU_CYCLE_1)
	s_mul_hi_u32 s19, s12, s17
	s_mul_i32 s18, s12, s17
	s_mul_hi_u32 s2, s12, s16
	s_mul_i32 s20, s13, s16
	s_add_nc_u64 s[18:19], s[2:3], s[18:19]
	s_mul_hi_u32 s15, s13, s16
	s_mul_hi_u32 s21, s13, s17
	s_add_co_u32 s2, s18, s20
	s_add_co_ci_u32 s2, s19, s15
	s_mul_i32 s16, s13, s17
	s_add_co_ci_u32 s17, s21, 0
	s_delay_alu instid0(SALU_CYCLE_1) | instskip(NEXT) | instid1(SALU_CYCLE_1)
	s_add_nc_u64 s[16:17], s[2:3], s[16:17]
	s_add_co_u32 s15, s12, s16
	s_cselect_b32 s2, -1, 0
	s_delay_alu instid0(SALU_CYCLE_1) | instskip(SKIP_2) | instid1(SALU_CYCLE_1)
	s_cmp_lg_u32 s2, 0
	s_add_co_ci_u32 s20, s13, s17
	s_ashr_i32 s12, s7, 31
	s_mov_b32 s13, s12
	s_delay_alu instid0(SALU_CYCLE_1) | instskip(NEXT) | instid1(SALU_CYCLE_1)
	s_add_nc_u64 s[16:17], s[6:7], s[12:13]
	s_xor_b64 s[16:17], s[16:17], s[12:13]
	s_delay_alu instid0(SALU_CYCLE_1)
	s_mul_hi_u32 s19, s16, s20
	s_mul_i32 s18, s16, s20
	s_mul_hi_u32 s2, s16, s15
	s_mul_hi_u32 s22, s17, s15
	s_mul_i32 s15, s17, s15
	s_add_nc_u64 s[18:19], s[2:3], s[18:19]
	s_mul_hi_u32 s21, s17, s20
	s_add_co_u32 s2, s18, s15
	s_add_co_ci_u32 s2, s19, s22
	s_mul_i32 s20, s17, s20
	s_add_co_ci_u32 s21, s21, 0
	s_delay_alu instid0(SALU_CYCLE_1) | instskip(NEXT) | instid1(SALU_CYCLE_1)
	s_add_nc_u64 s[18:19], s[2:3], s[20:21]
	s_and_b64 s[20:21], s[18:19], 0xffffffff00000000
	s_delay_alu instid0(SALU_CYCLE_1) | instskip(NEXT) | instid1(SALU_CYCLE_1)
	s_or_b32 s20, s20, s18
	s_mul_u64 s[18:19], s[10:11], s[20:21]
	s_delay_alu instid0(SALU_CYCLE_1)
	s_sub_co_u32 s2, s16, s18
	s_cselect_b32 s15, -1, 0
	s_sub_co_i32 s16, s17, s19
	s_cmp_lg_u32 s15, 0
	s_sub_co_ci_u32 s16, s16, s11
	s_sub_co_u32 s18, s2, s10
	s_cselect_b32 s22, -1, 0
	s_delay_alu instid0(SALU_CYCLE_1) | instskip(SKIP_2) | instid1(SALU_CYCLE_1)
	s_cmp_lg_u32 s22, 0
	s_add_nc_u64 s[22:23], s[20:21], 1
	s_sub_co_ci_u32 s16, s16, 0
	s_cmp_ge_u32 s16, s11
	s_cselect_b32 s24, -1, 0
	s_cmp_ge_u32 s18, s10
	s_cselect_b32 s18, -1, 0
	s_cmp_eq_u32 s16, s11
	s_cselect_b32 s16, s18, s24
	s_add_nc_u64 s[24:25], s[20:21], 2
	s_cmp_lg_u32 s16, 0
	s_cselect_b32 s16, s24, s22
	s_cselect_b32 s18, s25, s23
	s_cmp_lg_u32 s15, 0
	s_sub_co_ci_u32 s15, s17, s19
	s_delay_alu instid0(SALU_CYCLE_1)
	s_cmp_ge_u32 s15, s11
	s_cselect_b32 s17, -1, 0
	s_cmp_ge_u32 s2, s10
	s_cselect_b32 s2, -1, 0
	s_cmp_eq_u32 s15, s11
	s_cselect_b32 s2, s2, s17
	s_delay_alu instid0(SALU_CYCLE_1) | instskip(SKIP_3) | instid1(SALU_CYCLE_1)
	s_cmp_lg_u32 s2, 0
	s_cselect_b32 s11, s18, s21
	s_cselect_b32 s10, s16, s20
	s_xor_b64 s[8:9], s[12:13], s[8:9]
	s_xor_b64 s[10:11], s[10:11], s[8:9]
	s_delay_alu instid0(SALU_CYCLE_1)
	s_sub_nc_u64 s[12:13], s[10:11], s[8:9]
	s_load_b32 s2, s[0:1], 0xc4
	s_and_not1_b32 vcc_lo, exec_lo, s3
	s_cbranch_vccnz .LBB12_3
.LBB12_2:
	v_cvt_f32_u32_e32 v1, s4
	s_sub_co_i32 s8, 0, s4
	s_mov_b32 s13, 0
	s_delay_alu instid0(VALU_DEP_1) | instskip(SKIP_1) | instid1(TRANS32_DEP_1)
	v_rcp_iflag_f32_e32 v1, v1
	v_nop
	v_mul_f32_e32 v1, 0x4f7ffffe, v1
	s_delay_alu instid0(VALU_DEP_1) | instskip(NEXT) | instid1(VALU_DEP_1)
	v_cvt_u32_f32_e32 v1, v1
	v_readfirstlane_b32 s3, v1
	s_mul_i32 s8, s8, s3
	s_delay_alu instid0(SALU_CYCLE_1) | instskip(NEXT) | instid1(SALU_CYCLE_1)
	s_mul_hi_u32 s8, s3, s8
	s_add_co_i32 s3, s3, s8
	s_delay_alu instid0(SALU_CYCLE_1) | instskip(NEXT) | instid1(SALU_CYCLE_1)
	s_mul_hi_u32 s3, s6, s3
	s_mul_i32 s8, s3, s4
	s_add_co_i32 s9, s3, 1
	s_sub_co_i32 s8, s6, s8
	s_delay_alu instid0(SALU_CYCLE_1)
	s_sub_co_i32 s10, s8, s4
	s_cmp_ge_u32 s8, s4
	s_cselect_b32 s3, s9, s3
	s_cselect_b32 s8, s10, s8
	s_add_co_i32 s9, s3, 1
	s_cmp_ge_u32 s8, s4
	s_cselect_b32 s12, s9, s3
.LBB12_3:
	s_bfe_u32 s8, ttmp6, 0x40010
	s_and_b32 s15, ttmp7, 0xffff
	s_add_co_i32 s8, s8, 1
	s_bfe_u32 s17, ttmp6, 0x40004
	s_mul_i32 s16, s15, s8
	s_bfe_u32 s8, ttmp6, 0x4000c
	s_and_b32 s18, ttmp6, 15
	s_add_co_i32 s8, s8, 1
	s_wait_kmcnt 0x0
	s_lshr_b32 s3, s2, 16
	s_mul_i32 s19, ttmp9, s8
	s_load_b128 s[8:11], s[0:1], 0x18
	v_and_b32_e32 v2, 0x3ff, v0
	v_mov_b32_e32 v3, 0
	s_and_b32 s2, s2, 0xffff
	s_add_co_i32 s17, s17, s16
	s_add_co_i32 s18, s18, s19
	v_bfe_u32 v4, v0, 10, 10
	s_cmp_eq_u32 s14, 0
	s_cselect_b32 s14, ttmp9, s18
	s_cselect_b32 s15, s15, s17
	v_mad_nc_u64_u32 v[0:1], s2, s14, v[2:3]
	v_mad_u32 v2, s15, s3, v4
	s_wait_kmcnt 0x0
	s_delay_alu instid0(VALU_DEP_2) | instskip(NEXT) | instid1(VALU_DEP_2)
	v_cmp_gt_i64_e64 s2, s[10:11], v[0:1]
	v_cmp_gt_i64_e32 vcc_lo, s[8:9], v[2:3]
	s_and_b32 s2, vcc_lo, s2
	s_delay_alu instid0(SALU_CYCLE_1)
	s_and_saveexec_b32 s3, s2
	s_cbranch_execz .LBB12_7
; %bb.4:
	s_clause 0x1
	s_load_b256 s[16:23], s[0:1], 0x70
	s_load_b64 s[2:3], s[0:1], 0x48
	s_mul_u64 s[4:5], s[12:13], s[4:5]
	s_delay_alu instid0(SALU_CYCLE_1)
	s_sub_nc_u64 s[14:15], s[6:7], s[4:5]
	s_wait_kmcnt 0x0
	v_mul_u64_e32 v[4:5], s[20:21], v[2:3]
	v_mul_u64_e32 v[6:7], s[22:23], v[0:1]
	s_mul_u64 s[4:5], s[16:17], s[12:13]
	s_mul_u64 s[6:7], s[18:19], s[14:15]
	s_lshl_b64 s[4:5], s[4:5], 3
	s_lshl_b64 s[6:7], s[6:7], 3
	s_add_nc_u64 s[2:3], s[2:3], s[4:5]
	s_delay_alu instid0(SALU_CYCLE_1) | instskip(SKIP_1) | instid1(VALU_DEP_2)
	s_add_nc_u64 s[2:3], s[2:3], s[6:7]
	s_load_b256 s[4:11], s[0:1], 0x90
	v_lshl_add_u64 v[4:5], v[4:5], 3, s[2:3]
	s_wait_kmcnt 0x0
	s_mul_u64 s[2:3], s[8:9], s[6:7]
	s_delay_alu instid0(SALU_CYCLE_1) | instskip(NEXT) | instid1(VALU_DEP_1)
	s_mul_u64 s[6:7], s[2:3], s[10:11]
	v_lshl_add_u64 v[4:5], v[6:7], 3, v[4:5]
	global_load_b64 v[4:5], v[4:5], off
	s_wait_loadcnt 0x0
	v_cmp_lt_i64_e32 vcc_lo, -1, v[4:5]
	v_cmp_gt_i64_e64 s2, s[6:7], v[4:5]
	s_and_b32 s2, vcc_lo, s2
	s_delay_alu instid0(SALU_CYCLE_1) | instskip(NEXT) | instid1(SALU_CYCLE_1)
	s_and_saveexec_b32 s3, s2
	s_xor_b32 s2, exec_lo, s3
	s_cbranch_execz .LBB12_6
; %bb.5:
	s_load_b256 s[16:23], s[0:1], 0x28
	s_wait_kmcnt 0x0
	v_mul_u64_e32 v[2:3], s[20:21], v[2:3]
	v_mul_u64_e32 v[0:1], s[22:23], v[0:1]
	s_load_b64 s[0:1], s[0:1], 0x0
	s_mul_u64 s[8:9], s[16:17], s[12:13]
	s_mul_u64 s[10:11], s[18:19], s[14:15]
	s_lshl_b64 s[8:9], s[8:9], 3
	s_wait_kmcnt 0x0
	s_add_nc_u64 s[0:1], s[0:1], s[8:9]
	s_lshl_b64 s[8:9], s[10:11], 3
	s_delay_alu instid0(SALU_CYCLE_1)
	s_add_nc_u64 s[0:1], s[0:1], s[8:9]
	s_delay_alu instid0(VALU_DEP_2) | instid1(SALU_CYCLE_1)
	v_lshl_add_u64 v[2:3], v[2:3], 3, s[0:1]
	s_mul_u64 s[0:1], s[6:7], s[12:13]
	s_delay_alu instid0(SALU_CYCLE_1) | instskip(NEXT) | instid1(SALU_CYCLE_1)
	s_lshl_b64 s[0:1], s[0:1], 3
	s_add_nc_u64 s[0:1], s[4:5], s[0:1]
	s_delay_alu instid0(VALU_DEP_1)
	v_lshl_add_u64 v[0:1], v[0:1], 3, v[2:3]
	v_lshl_add_u64 v[2:3], v[4:5], 3, s[0:1]
	global_load_b64 v[0:1], v[0:1], off
	s_wait_loadcnt 0x0
	global_store_b64 v[2:3], v[0:1], off
.LBB12_6:
	s_wait_xcnt 0x0
	s_and_not1_saveexec_b32 s0, s2
	s_cbranch_execnz .LBB12_9
.LBB12_7:
	s_endpgm
.LBB12_8:
                                        ; implicit-def: $sgpr12_sgpr13
	s_load_b32 s2, s[0:1], 0xc4
	s_branch .LBB12_2
.LBB12_9:
	s_trap 2
	; divergent unreachable
	s_endpgm
	.section	.rodata,"a",@progbits
	.p2align	6, 0x0
	.amdhsa_kernel _ZN2at6native30max_unpooling3d_forward_kernelIlEEvN5torch10headeronly6detail27GenericPackedTensorAccessorINS4_14TensorAccessorIN3c108ArrayRefIlEEKT_Lm3ENS3_16DefaultPtrTraitsElEENS_6detail16IndexBoundsCheckILm4ElEESB_Lm4ESC_lEENS5_INS6_IS9_KlLm3ESC_lEESG_SI_Lm4ESC_lEEPSA_llll
		.amdhsa_group_segment_fixed_size 0
		.amdhsa_private_segment_fixed_size 0
		.amdhsa_kernarg_size 440
		.amdhsa_user_sgpr_count 2
		.amdhsa_user_sgpr_dispatch_ptr 0
		.amdhsa_user_sgpr_queue_ptr 0
		.amdhsa_user_sgpr_kernarg_segment_ptr 1
		.amdhsa_user_sgpr_dispatch_id 0
		.amdhsa_user_sgpr_kernarg_preload_length 0
		.amdhsa_user_sgpr_kernarg_preload_offset 0
		.amdhsa_user_sgpr_private_segment_size 0
		.amdhsa_wavefront_size32 1
		.amdhsa_uses_dynamic_stack 0
		.amdhsa_enable_private_segment 0
		.amdhsa_system_sgpr_workgroup_id_x 1
		.amdhsa_system_sgpr_workgroup_id_y 1
		.amdhsa_system_sgpr_workgroup_id_z 1
		.amdhsa_system_sgpr_workgroup_info 0
		.amdhsa_system_vgpr_workitem_id 1
		.amdhsa_next_free_vgpr 8
		.amdhsa_next_free_sgpr 26
		.amdhsa_named_barrier_count 0
		.amdhsa_reserve_vcc 1
		.amdhsa_float_round_mode_32 0
		.amdhsa_float_round_mode_16_64 0
		.amdhsa_float_denorm_mode_32 3
		.amdhsa_float_denorm_mode_16_64 3
		.amdhsa_fp16_overflow 0
		.amdhsa_memory_ordered 1
		.amdhsa_forward_progress 1
		.amdhsa_inst_pref_size 10
		.amdhsa_round_robin_scheduling 0
		.amdhsa_exception_fp_ieee_invalid_op 0
		.amdhsa_exception_fp_denorm_src 0
		.amdhsa_exception_fp_ieee_div_zero 0
		.amdhsa_exception_fp_ieee_overflow 0
		.amdhsa_exception_fp_ieee_underflow 0
		.amdhsa_exception_fp_ieee_inexact 0
		.amdhsa_exception_int_div_zero 0
	.end_amdhsa_kernel
	.section	.text._ZN2at6native30max_unpooling3d_forward_kernelIlEEvN5torch10headeronly6detail27GenericPackedTensorAccessorINS4_14TensorAccessorIN3c108ArrayRefIlEEKT_Lm3ENS3_16DefaultPtrTraitsElEENS_6detail16IndexBoundsCheckILm4ElEESB_Lm4ESC_lEENS5_INS6_IS9_KlLm3ESC_lEESG_SI_Lm4ESC_lEEPSA_llll,"axG",@progbits,_ZN2at6native30max_unpooling3d_forward_kernelIlEEvN5torch10headeronly6detail27GenericPackedTensorAccessorINS4_14TensorAccessorIN3c108ArrayRefIlEEKT_Lm3ENS3_16DefaultPtrTraitsElEENS_6detail16IndexBoundsCheckILm4ElEESB_Lm4ESC_lEENS5_INS6_IS9_KlLm3ESC_lEESG_SI_Lm4ESC_lEEPSA_llll,comdat
.Lfunc_end12:
	.size	_ZN2at6native30max_unpooling3d_forward_kernelIlEEvN5torch10headeronly6detail27GenericPackedTensorAccessorINS4_14TensorAccessorIN3c108ArrayRefIlEEKT_Lm3ENS3_16DefaultPtrTraitsElEENS_6detail16IndexBoundsCheckILm4ElEESB_Lm4ESC_lEENS5_INS6_IS9_KlLm3ESC_lEESG_SI_Lm4ESC_lEEPSA_llll, .Lfunc_end12-_ZN2at6native30max_unpooling3d_forward_kernelIlEEvN5torch10headeronly6detail27GenericPackedTensorAccessorINS4_14TensorAccessorIN3c108ArrayRefIlEEKT_Lm3ENS3_16DefaultPtrTraitsElEENS_6detail16IndexBoundsCheckILm4ElEESB_Lm4ESC_lEENS5_INS6_IS9_KlLm3ESC_lEESG_SI_Lm4ESC_lEEPSA_llll
                                        ; -- End function
	.set _ZN2at6native30max_unpooling3d_forward_kernelIlEEvN5torch10headeronly6detail27GenericPackedTensorAccessorINS4_14TensorAccessorIN3c108ArrayRefIlEEKT_Lm3ENS3_16DefaultPtrTraitsElEENS_6detail16IndexBoundsCheckILm4ElEESB_Lm4ESC_lEENS5_INS6_IS9_KlLm3ESC_lEESG_SI_Lm4ESC_lEEPSA_llll.num_vgpr, 8
	.set _ZN2at6native30max_unpooling3d_forward_kernelIlEEvN5torch10headeronly6detail27GenericPackedTensorAccessorINS4_14TensorAccessorIN3c108ArrayRefIlEEKT_Lm3ENS3_16DefaultPtrTraitsElEENS_6detail16IndexBoundsCheckILm4ElEESB_Lm4ESC_lEENS5_INS6_IS9_KlLm3ESC_lEESG_SI_Lm4ESC_lEEPSA_llll.num_agpr, 0
	.set _ZN2at6native30max_unpooling3d_forward_kernelIlEEvN5torch10headeronly6detail27GenericPackedTensorAccessorINS4_14TensorAccessorIN3c108ArrayRefIlEEKT_Lm3ENS3_16DefaultPtrTraitsElEENS_6detail16IndexBoundsCheckILm4ElEESB_Lm4ESC_lEENS5_INS6_IS9_KlLm3ESC_lEESG_SI_Lm4ESC_lEEPSA_llll.numbered_sgpr, 26
	.set _ZN2at6native30max_unpooling3d_forward_kernelIlEEvN5torch10headeronly6detail27GenericPackedTensorAccessorINS4_14TensorAccessorIN3c108ArrayRefIlEEKT_Lm3ENS3_16DefaultPtrTraitsElEENS_6detail16IndexBoundsCheckILm4ElEESB_Lm4ESC_lEENS5_INS6_IS9_KlLm3ESC_lEESG_SI_Lm4ESC_lEEPSA_llll.num_named_barrier, 0
	.set _ZN2at6native30max_unpooling3d_forward_kernelIlEEvN5torch10headeronly6detail27GenericPackedTensorAccessorINS4_14TensorAccessorIN3c108ArrayRefIlEEKT_Lm3ENS3_16DefaultPtrTraitsElEENS_6detail16IndexBoundsCheckILm4ElEESB_Lm4ESC_lEENS5_INS6_IS9_KlLm3ESC_lEESG_SI_Lm4ESC_lEEPSA_llll.private_seg_size, 0
	.set _ZN2at6native30max_unpooling3d_forward_kernelIlEEvN5torch10headeronly6detail27GenericPackedTensorAccessorINS4_14TensorAccessorIN3c108ArrayRefIlEEKT_Lm3ENS3_16DefaultPtrTraitsElEENS_6detail16IndexBoundsCheckILm4ElEESB_Lm4ESC_lEENS5_INS6_IS9_KlLm3ESC_lEESG_SI_Lm4ESC_lEEPSA_llll.uses_vcc, 1
	.set _ZN2at6native30max_unpooling3d_forward_kernelIlEEvN5torch10headeronly6detail27GenericPackedTensorAccessorINS4_14TensorAccessorIN3c108ArrayRefIlEEKT_Lm3ENS3_16DefaultPtrTraitsElEENS_6detail16IndexBoundsCheckILm4ElEESB_Lm4ESC_lEENS5_INS6_IS9_KlLm3ESC_lEESG_SI_Lm4ESC_lEEPSA_llll.uses_flat_scratch, 0
	.set _ZN2at6native30max_unpooling3d_forward_kernelIlEEvN5torch10headeronly6detail27GenericPackedTensorAccessorINS4_14TensorAccessorIN3c108ArrayRefIlEEKT_Lm3ENS3_16DefaultPtrTraitsElEENS_6detail16IndexBoundsCheckILm4ElEESB_Lm4ESC_lEENS5_INS6_IS9_KlLm3ESC_lEESG_SI_Lm4ESC_lEEPSA_llll.has_dyn_sized_stack, 0
	.set _ZN2at6native30max_unpooling3d_forward_kernelIlEEvN5torch10headeronly6detail27GenericPackedTensorAccessorINS4_14TensorAccessorIN3c108ArrayRefIlEEKT_Lm3ENS3_16DefaultPtrTraitsElEENS_6detail16IndexBoundsCheckILm4ElEESB_Lm4ESC_lEENS5_INS6_IS9_KlLm3ESC_lEESG_SI_Lm4ESC_lEEPSA_llll.has_recursion, 0
	.set _ZN2at6native30max_unpooling3d_forward_kernelIlEEvN5torch10headeronly6detail27GenericPackedTensorAccessorINS4_14TensorAccessorIN3c108ArrayRefIlEEKT_Lm3ENS3_16DefaultPtrTraitsElEENS_6detail16IndexBoundsCheckILm4ElEESB_Lm4ESC_lEENS5_INS6_IS9_KlLm3ESC_lEESG_SI_Lm4ESC_lEEPSA_llll.has_indirect_call, 0
	.section	.AMDGPU.csdata,"",@progbits
; Kernel info:
; codeLenInByte = 1256
; TotalNumSgprs: 28
; NumVgprs: 8
; ScratchSize: 0
; MemoryBound: 0
; FloatMode: 240
; IeeeMode: 1
; LDSByteSize: 0 bytes/workgroup (compile time only)
; SGPRBlocks: 0
; VGPRBlocks: 0
; NumSGPRsForWavesPerEU: 28
; NumVGPRsForWavesPerEU: 8
; NamedBarCnt: 0
; Occupancy: 16
; WaveLimiterHint : 1
; COMPUTE_PGM_RSRC2:SCRATCH_EN: 0
; COMPUTE_PGM_RSRC2:USER_SGPR: 2
; COMPUTE_PGM_RSRC2:TRAP_HANDLER: 0
; COMPUTE_PGM_RSRC2:TGID_X_EN: 1
; COMPUTE_PGM_RSRC2:TGID_Y_EN: 1
; COMPUTE_PGM_RSRC2:TGID_Z_EN: 1
; COMPUTE_PGM_RSRC2:TIDIG_COMP_CNT: 1
	.section	.text._ZN2at6native30max_unpooling3d_forward_kernelIsEEvN5torch10headeronly6detail27GenericPackedTensorAccessorINS4_14TensorAccessorIN3c108ArrayRefIlEEKT_Lm3ENS3_16DefaultPtrTraitsElEENS_6detail16IndexBoundsCheckILm4ElEESB_Lm4ESC_lEENS5_INS6_IS9_KlLm3ESC_lEESG_SI_Lm4ESC_lEEPSA_llll,"axG",@progbits,_ZN2at6native30max_unpooling3d_forward_kernelIsEEvN5torch10headeronly6detail27GenericPackedTensorAccessorINS4_14TensorAccessorIN3c108ArrayRefIlEEKT_Lm3ENS3_16DefaultPtrTraitsElEENS_6detail16IndexBoundsCheckILm4ElEESB_Lm4ESC_lEENS5_INS6_IS9_KlLm3ESC_lEESG_SI_Lm4ESC_lEEPSA_llll,comdat
	.protected	_ZN2at6native30max_unpooling3d_forward_kernelIsEEvN5torch10headeronly6detail27GenericPackedTensorAccessorINS4_14TensorAccessorIN3c108ArrayRefIlEEKT_Lm3ENS3_16DefaultPtrTraitsElEENS_6detail16IndexBoundsCheckILm4ElEESB_Lm4ESC_lEENS5_INS6_IS9_KlLm3ESC_lEESG_SI_Lm4ESC_lEEPSA_llll ; -- Begin function _ZN2at6native30max_unpooling3d_forward_kernelIsEEvN5torch10headeronly6detail27GenericPackedTensorAccessorINS4_14TensorAccessorIN3c108ArrayRefIlEEKT_Lm3ENS3_16DefaultPtrTraitsElEENS_6detail16IndexBoundsCheckILm4ElEESB_Lm4ESC_lEENS5_INS6_IS9_KlLm3ESC_lEESG_SI_Lm4ESC_lEEPSA_llll
	.globl	_ZN2at6native30max_unpooling3d_forward_kernelIsEEvN5torch10headeronly6detail27GenericPackedTensorAccessorINS4_14TensorAccessorIN3c108ArrayRefIlEEKT_Lm3ENS3_16DefaultPtrTraitsElEENS_6detail16IndexBoundsCheckILm4ElEESB_Lm4ESC_lEENS5_INS6_IS9_KlLm3ESC_lEESG_SI_Lm4ESC_lEEPSA_llll
	.p2align	8
	.type	_ZN2at6native30max_unpooling3d_forward_kernelIsEEvN5torch10headeronly6detail27GenericPackedTensorAccessorINS4_14TensorAccessorIN3c108ArrayRefIlEEKT_Lm3ENS3_16DefaultPtrTraitsElEENS_6detail16IndexBoundsCheckILm4ElEESB_Lm4ESC_lEENS5_INS6_IS9_KlLm3ESC_lEESG_SI_Lm4ESC_lEEPSA_llll,@function
_ZN2at6native30max_unpooling3d_forward_kernelIsEEvN5torch10headeronly6detail27GenericPackedTensorAccessorINS4_14TensorAccessorIN3c108ArrayRefIlEEKT_Lm3ENS3_16DefaultPtrTraitsElEENS_6detail16IndexBoundsCheckILm4ElEESB_Lm4ESC_lEENS5_INS6_IS9_KlLm3ESC_lEESG_SI_Lm4ESC_lEEPSA_llll: ; @_ZN2at6native30max_unpooling3d_forward_kernelIsEEvN5torch10headeronly6detail27GenericPackedTensorAccessorINS4_14TensorAccessorIN3c108ArrayRefIlEEKT_Lm3ENS3_16DefaultPtrTraitsElEENS_6detail16IndexBoundsCheckILm4ElEESB_Lm4ESC_lEENS5_INS6_IS9_KlLm3ESC_lEESG_SI_Lm4ESC_lEEPSA_llll
; %bb.0:
	s_clause 0x1
	s_load_b64 s[6:7], s[0:1], 0xb0
	s_load_b64 s[4:5], s[0:1], 0x10
	s_bfe_u32 s2, ttmp6, 0x40014
	s_lshr_b32 s8, ttmp7, 16
	s_add_co_i32 s2, s2, 1
	s_bfe_u32 s3, ttmp6, 0x40008
	s_mul_i32 s2, s8, s2
	s_getreg_b32 s14, hwreg(HW_REG_IB_STS2, 6, 4)
	s_add_co_i32 s2, s3, s2
	s_cmp_eq_u32 s14, 0
	s_mov_b32 s3, 0
	s_cselect_b32 s2, s8, s2
	s_wait_kmcnt 0x0
	s_add_nc_u64 s[6:7], s[6:7], s[2:3]
	s_delay_alu instid0(SALU_CYCLE_1) | instskip(NEXT) | instid1(SALU_CYCLE_1)
	s_or_b64 s[8:9], s[6:7], s[4:5]
	s_and_b64 s[8:9], s[8:9], 0xffffffff00000000
	s_delay_alu instid0(SALU_CYCLE_1)
	s_cmp_lg_u64 s[8:9], 0
	s_cbranch_scc0 .LBB13_8
; %bb.1:
	s_ashr_i32 s8, s5, 31
	s_delay_alu instid0(SALU_CYCLE_1) | instskip(NEXT) | instid1(SALU_CYCLE_1)
	s_mov_b32 s9, s8
	s_add_nc_u64 s[10:11], s[4:5], s[8:9]
	s_delay_alu instid0(SALU_CYCLE_1) | instskip(NEXT) | instid1(SALU_CYCLE_1)
	s_xor_b64 s[10:11], s[10:11], s[8:9]
	s_cvt_f32_u32 s2, s10
	s_cvt_f32_u32 s12, s11
	s_sub_nc_u64 s[16:17], 0, s[10:11]
	s_delay_alu instid0(SALU_CYCLE_2) | instskip(NEXT) | instid1(SALU_CYCLE_3)
	s_fmamk_f32 s2, s12, 0x4f800000, s2
	v_s_rcp_f32 s2, s2
	s_delay_alu instid0(TRANS32_DEP_1) | instskip(NEXT) | instid1(SALU_CYCLE_3)
	s_mul_f32 s2, s2, 0x5f7ffffc
	s_mul_f32 s12, s2, 0x2f800000
	s_delay_alu instid0(SALU_CYCLE_3) | instskip(NEXT) | instid1(SALU_CYCLE_3)
	s_trunc_f32 s12, s12
	s_fmamk_f32 s2, s12, 0xcf800000, s2
	s_cvt_u32_f32 s13, s12
	s_delay_alu instid0(SALU_CYCLE_2) | instskip(NEXT) | instid1(SALU_CYCLE_3)
	s_cvt_u32_f32 s12, s2
	s_mul_u64 s[18:19], s[16:17], s[12:13]
	s_delay_alu instid0(SALU_CYCLE_1)
	s_mul_hi_u32 s21, s12, s19
	s_mul_i32 s20, s12, s19
	s_mul_hi_u32 s2, s12, s18
	s_mul_i32 s22, s13, s18
	s_add_nc_u64 s[20:21], s[2:3], s[20:21]
	s_mul_hi_u32 s15, s13, s18
	s_mul_hi_u32 s23, s13, s19
	s_add_co_u32 s2, s20, s22
	s_add_co_ci_u32 s2, s21, s15
	s_mul_i32 s18, s13, s19
	s_add_co_ci_u32 s19, s23, 0
	s_delay_alu instid0(SALU_CYCLE_1) | instskip(NEXT) | instid1(SALU_CYCLE_1)
	s_add_nc_u64 s[18:19], s[2:3], s[18:19]
	s_add_co_u32 s12, s12, s18
	s_cselect_b32 s2, -1, 0
	s_delay_alu instid0(SALU_CYCLE_1) | instskip(SKIP_1) | instid1(SALU_CYCLE_1)
	s_cmp_lg_u32 s2, 0
	s_add_co_ci_u32 s13, s13, s19
	s_mul_u64 s[16:17], s[16:17], s[12:13]
	s_delay_alu instid0(SALU_CYCLE_1)
	s_mul_hi_u32 s19, s12, s17
	s_mul_i32 s18, s12, s17
	s_mul_hi_u32 s2, s12, s16
	s_mul_i32 s20, s13, s16
	s_add_nc_u64 s[18:19], s[2:3], s[18:19]
	s_mul_hi_u32 s15, s13, s16
	s_mul_hi_u32 s21, s13, s17
	s_add_co_u32 s2, s18, s20
	s_add_co_ci_u32 s2, s19, s15
	s_mul_i32 s16, s13, s17
	s_add_co_ci_u32 s17, s21, 0
	s_delay_alu instid0(SALU_CYCLE_1) | instskip(NEXT) | instid1(SALU_CYCLE_1)
	s_add_nc_u64 s[16:17], s[2:3], s[16:17]
	s_add_co_u32 s15, s12, s16
	s_cselect_b32 s2, -1, 0
	s_delay_alu instid0(SALU_CYCLE_1) | instskip(SKIP_2) | instid1(SALU_CYCLE_1)
	s_cmp_lg_u32 s2, 0
	s_add_co_ci_u32 s20, s13, s17
	s_ashr_i32 s12, s7, 31
	s_mov_b32 s13, s12
	s_delay_alu instid0(SALU_CYCLE_1) | instskip(NEXT) | instid1(SALU_CYCLE_1)
	s_add_nc_u64 s[16:17], s[6:7], s[12:13]
	s_xor_b64 s[16:17], s[16:17], s[12:13]
	s_delay_alu instid0(SALU_CYCLE_1)
	s_mul_hi_u32 s19, s16, s20
	s_mul_i32 s18, s16, s20
	s_mul_hi_u32 s2, s16, s15
	s_mul_hi_u32 s22, s17, s15
	s_mul_i32 s15, s17, s15
	s_add_nc_u64 s[18:19], s[2:3], s[18:19]
	s_mul_hi_u32 s21, s17, s20
	s_add_co_u32 s2, s18, s15
	s_add_co_ci_u32 s2, s19, s22
	s_mul_i32 s20, s17, s20
	s_add_co_ci_u32 s21, s21, 0
	s_delay_alu instid0(SALU_CYCLE_1) | instskip(NEXT) | instid1(SALU_CYCLE_1)
	s_add_nc_u64 s[18:19], s[2:3], s[20:21]
	s_and_b64 s[20:21], s[18:19], 0xffffffff00000000
	s_delay_alu instid0(SALU_CYCLE_1) | instskip(NEXT) | instid1(SALU_CYCLE_1)
	s_or_b32 s20, s20, s18
	s_mul_u64 s[18:19], s[10:11], s[20:21]
	s_delay_alu instid0(SALU_CYCLE_1)
	s_sub_co_u32 s2, s16, s18
	s_cselect_b32 s15, -1, 0
	s_sub_co_i32 s16, s17, s19
	s_cmp_lg_u32 s15, 0
	s_sub_co_ci_u32 s16, s16, s11
	s_sub_co_u32 s18, s2, s10
	s_cselect_b32 s22, -1, 0
	s_delay_alu instid0(SALU_CYCLE_1) | instskip(SKIP_2) | instid1(SALU_CYCLE_1)
	s_cmp_lg_u32 s22, 0
	s_add_nc_u64 s[22:23], s[20:21], 1
	s_sub_co_ci_u32 s16, s16, 0
	s_cmp_ge_u32 s16, s11
	s_cselect_b32 s24, -1, 0
	s_cmp_ge_u32 s18, s10
	s_cselect_b32 s18, -1, 0
	s_cmp_eq_u32 s16, s11
	s_cselect_b32 s16, s18, s24
	s_add_nc_u64 s[24:25], s[20:21], 2
	s_cmp_lg_u32 s16, 0
	s_cselect_b32 s16, s24, s22
	s_cselect_b32 s18, s25, s23
	s_cmp_lg_u32 s15, 0
	s_sub_co_ci_u32 s15, s17, s19
	s_delay_alu instid0(SALU_CYCLE_1)
	s_cmp_ge_u32 s15, s11
	s_cselect_b32 s17, -1, 0
	s_cmp_ge_u32 s2, s10
	s_cselect_b32 s2, -1, 0
	s_cmp_eq_u32 s15, s11
	s_cselect_b32 s2, s2, s17
	s_delay_alu instid0(SALU_CYCLE_1) | instskip(SKIP_3) | instid1(SALU_CYCLE_1)
	s_cmp_lg_u32 s2, 0
	s_cselect_b32 s11, s18, s21
	s_cselect_b32 s10, s16, s20
	s_xor_b64 s[8:9], s[12:13], s[8:9]
	s_xor_b64 s[10:11], s[10:11], s[8:9]
	s_delay_alu instid0(SALU_CYCLE_1)
	s_sub_nc_u64 s[12:13], s[10:11], s[8:9]
	s_load_b32 s2, s[0:1], 0xc4
	s_and_not1_b32 vcc_lo, exec_lo, s3
	s_cbranch_vccnz .LBB13_3
.LBB13_2:
	v_cvt_f32_u32_e32 v1, s4
	s_sub_co_i32 s8, 0, s4
	s_mov_b32 s13, 0
	s_delay_alu instid0(VALU_DEP_1) | instskip(SKIP_1) | instid1(TRANS32_DEP_1)
	v_rcp_iflag_f32_e32 v1, v1
	v_nop
	v_mul_f32_e32 v1, 0x4f7ffffe, v1
	s_delay_alu instid0(VALU_DEP_1) | instskip(NEXT) | instid1(VALU_DEP_1)
	v_cvt_u32_f32_e32 v1, v1
	v_readfirstlane_b32 s3, v1
	s_mul_i32 s8, s8, s3
	s_delay_alu instid0(SALU_CYCLE_1) | instskip(NEXT) | instid1(SALU_CYCLE_1)
	s_mul_hi_u32 s8, s3, s8
	s_add_co_i32 s3, s3, s8
	s_delay_alu instid0(SALU_CYCLE_1) | instskip(NEXT) | instid1(SALU_CYCLE_1)
	s_mul_hi_u32 s3, s6, s3
	s_mul_i32 s8, s3, s4
	s_add_co_i32 s9, s3, 1
	s_sub_co_i32 s8, s6, s8
	s_delay_alu instid0(SALU_CYCLE_1)
	s_sub_co_i32 s10, s8, s4
	s_cmp_ge_u32 s8, s4
	s_cselect_b32 s3, s9, s3
	s_cselect_b32 s8, s10, s8
	s_add_co_i32 s9, s3, 1
	s_cmp_ge_u32 s8, s4
	s_cselect_b32 s12, s9, s3
.LBB13_3:
	s_bfe_u32 s8, ttmp6, 0x40010
	s_and_b32 s15, ttmp7, 0xffff
	s_add_co_i32 s8, s8, 1
	s_bfe_u32 s17, ttmp6, 0x40004
	s_mul_i32 s16, s15, s8
	s_bfe_u32 s8, ttmp6, 0x4000c
	s_and_b32 s18, ttmp6, 15
	s_add_co_i32 s8, s8, 1
	s_wait_kmcnt 0x0
	s_lshr_b32 s3, s2, 16
	s_mul_i32 s19, ttmp9, s8
	s_load_b128 s[8:11], s[0:1], 0x18
	v_and_b32_e32 v2, 0x3ff, v0
	v_mov_b32_e32 v3, 0
	s_and_b32 s2, s2, 0xffff
	s_add_co_i32 s17, s17, s16
	s_add_co_i32 s18, s18, s19
	v_bfe_u32 v4, v0, 10, 10
	s_cmp_eq_u32 s14, 0
	s_cselect_b32 s14, ttmp9, s18
	s_cselect_b32 s15, s15, s17
	v_mad_nc_u64_u32 v[0:1], s2, s14, v[2:3]
	v_mad_u32 v2, s15, s3, v4
	s_wait_kmcnt 0x0
	s_delay_alu instid0(VALU_DEP_2) | instskip(NEXT) | instid1(VALU_DEP_2)
	v_cmp_gt_i64_e64 s2, s[10:11], v[0:1]
	v_cmp_gt_i64_e32 vcc_lo, s[8:9], v[2:3]
	s_and_b32 s2, vcc_lo, s2
	s_delay_alu instid0(SALU_CYCLE_1)
	s_and_saveexec_b32 s3, s2
	s_cbranch_execz .LBB13_7
; %bb.4:
	s_clause 0x1
	s_load_b256 s[16:23], s[0:1], 0x70
	s_load_b64 s[2:3], s[0:1], 0x48
	s_mul_u64 s[4:5], s[12:13], s[4:5]
	s_delay_alu instid0(SALU_CYCLE_1)
	s_sub_nc_u64 s[14:15], s[6:7], s[4:5]
	s_wait_kmcnt 0x0
	v_mul_u64_e32 v[4:5], s[20:21], v[2:3]
	v_mul_u64_e32 v[6:7], s[22:23], v[0:1]
	s_mul_u64 s[4:5], s[16:17], s[12:13]
	s_mul_u64 s[6:7], s[18:19], s[14:15]
	s_lshl_b64 s[4:5], s[4:5], 3
	s_lshl_b64 s[6:7], s[6:7], 3
	s_add_nc_u64 s[2:3], s[2:3], s[4:5]
	s_delay_alu instid0(SALU_CYCLE_1) | instskip(SKIP_1) | instid1(VALU_DEP_2)
	s_add_nc_u64 s[2:3], s[2:3], s[6:7]
	s_load_b256 s[4:11], s[0:1], 0x90
	v_lshl_add_u64 v[4:5], v[4:5], 3, s[2:3]
	s_wait_kmcnt 0x0
	s_mul_u64 s[2:3], s[8:9], s[6:7]
	s_delay_alu instid0(SALU_CYCLE_1) | instskip(NEXT) | instid1(VALU_DEP_1)
	s_mul_u64 s[6:7], s[2:3], s[10:11]
	v_lshl_add_u64 v[4:5], v[6:7], 3, v[4:5]
	global_load_b64 v[4:5], v[4:5], off
	s_wait_loadcnt 0x0
	v_cmp_lt_i64_e32 vcc_lo, -1, v[4:5]
	v_cmp_gt_i64_e64 s2, s[6:7], v[4:5]
	s_and_b32 s2, vcc_lo, s2
	s_delay_alu instid0(SALU_CYCLE_1) | instskip(NEXT) | instid1(SALU_CYCLE_1)
	s_and_saveexec_b32 s3, s2
	s_xor_b32 s2, exec_lo, s3
	s_cbranch_execz .LBB13_6
; %bb.5:
	s_load_b256 s[16:23], s[0:1], 0x28
	s_wait_kmcnt 0x0
	v_mul_u64_e32 v[2:3], s[20:21], v[2:3]
	v_mul_u64_e32 v[0:1], s[22:23], v[0:1]
	s_load_b64 s[0:1], s[0:1], 0x0
	s_mul_u64 s[8:9], s[16:17], s[12:13]
	s_mul_u64 s[10:11], s[18:19], s[14:15]
	s_lshl_b64 s[8:9], s[8:9], 1
	s_wait_kmcnt 0x0
	s_add_nc_u64 s[0:1], s[0:1], s[8:9]
	s_lshl_b64 s[8:9], s[10:11], 1
	s_delay_alu instid0(SALU_CYCLE_1)
	s_add_nc_u64 s[0:1], s[0:1], s[8:9]
	s_delay_alu instid0(VALU_DEP_2) | instid1(SALU_CYCLE_1)
	v_lshl_add_u64 v[2:3], v[2:3], 1, s[0:1]
	s_mul_u64 s[0:1], s[6:7], s[12:13]
	s_delay_alu instid0(SALU_CYCLE_1) | instskip(NEXT) | instid1(SALU_CYCLE_1)
	s_lshl_b64 s[0:1], s[0:1], 1
	s_add_nc_u64 s[0:1], s[4:5], s[0:1]
	s_delay_alu instid0(VALU_DEP_1)
	v_lshl_add_u64 v[0:1], v[0:1], 1, v[2:3]
	global_load_u16 v2, v[0:1], off
	s_wait_xcnt 0x0
	v_lshl_add_u64 v[0:1], v[4:5], 1, s[0:1]
	s_wait_loadcnt 0x0
	global_store_b16 v[0:1], v2, off
.LBB13_6:
	s_wait_xcnt 0x0
	s_and_not1_saveexec_b32 s0, s2
	s_cbranch_execnz .LBB13_9
.LBB13_7:
	s_endpgm
.LBB13_8:
                                        ; implicit-def: $sgpr12_sgpr13
	s_load_b32 s2, s[0:1], 0xc4
	s_branch .LBB13_2
.LBB13_9:
	s_trap 2
	; divergent unreachable
	s_endpgm
	.section	.rodata,"a",@progbits
	.p2align	6, 0x0
	.amdhsa_kernel _ZN2at6native30max_unpooling3d_forward_kernelIsEEvN5torch10headeronly6detail27GenericPackedTensorAccessorINS4_14TensorAccessorIN3c108ArrayRefIlEEKT_Lm3ENS3_16DefaultPtrTraitsElEENS_6detail16IndexBoundsCheckILm4ElEESB_Lm4ESC_lEENS5_INS6_IS9_KlLm3ESC_lEESG_SI_Lm4ESC_lEEPSA_llll
		.amdhsa_group_segment_fixed_size 0
		.amdhsa_private_segment_fixed_size 0
		.amdhsa_kernarg_size 440
		.amdhsa_user_sgpr_count 2
		.amdhsa_user_sgpr_dispatch_ptr 0
		.amdhsa_user_sgpr_queue_ptr 0
		.amdhsa_user_sgpr_kernarg_segment_ptr 1
		.amdhsa_user_sgpr_dispatch_id 0
		.amdhsa_user_sgpr_kernarg_preload_length 0
		.amdhsa_user_sgpr_kernarg_preload_offset 0
		.amdhsa_user_sgpr_private_segment_size 0
		.amdhsa_wavefront_size32 1
		.amdhsa_uses_dynamic_stack 0
		.amdhsa_enable_private_segment 0
		.amdhsa_system_sgpr_workgroup_id_x 1
		.amdhsa_system_sgpr_workgroup_id_y 1
		.amdhsa_system_sgpr_workgroup_id_z 1
		.amdhsa_system_sgpr_workgroup_info 0
		.amdhsa_system_vgpr_workitem_id 1
		.amdhsa_next_free_vgpr 8
		.amdhsa_next_free_sgpr 26
		.amdhsa_named_barrier_count 0
		.amdhsa_reserve_vcc 1
		.amdhsa_float_round_mode_32 0
		.amdhsa_float_round_mode_16_64 0
		.amdhsa_float_denorm_mode_32 3
		.amdhsa_float_denorm_mode_16_64 3
		.amdhsa_fp16_overflow 0
		.amdhsa_memory_ordered 1
		.amdhsa_forward_progress 1
		.amdhsa_inst_pref_size 10
		.amdhsa_round_robin_scheduling 0
		.amdhsa_exception_fp_ieee_invalid_op 0
		.amdhsa_exception_fp_denorm_src 0
		.amdhsa_exception_fp_ieee_div_zero 0
		.amdhsa_exception_fp_ieee_overflow 0
		.amdhsa_exception_fp_ieee_underflow 0
		.amdhsa_exception_fp_ieee_inexact 0
		.amdhsa_exception_int_div_zero 0
	.end_amdhsa_kernel
	.section	.text._ZN2at6native30max_unpooling3d_forward_kernelIsEEvN5torch10headeronly6detail27GenericPackedTensorAccessorINS4_14TensorAccessorIN3c108ArrayRefIlEEKT_Lm3ENS3_16DefaultPtrTraitsElEENS_6detail16IndexBoundsCheckILm4ElEESB_Lm4ESC_lEENS5_INS6_IS9_KlLm3ESC_lEESG_SI_Lm4ESC_lEEPSA_llll,"axG",@progbits,_ZN2at6native30max_unpooling3d_forward_kernelIsEEvN5torch10headeronly6detail27GenericPackedTensorAccessorINS4_14TensorAccessorIN3c108ArrayRefIlEEKT_Lm3ENS3_16DefaultPtrTraitsElEENS_6detail16IndexBoundsCheckILm4ElEESB_Lm4ESC_lEENS5_INS6_IS9_KlLm3ESC_lEESG_SI_Lm4ESC_lEEPSA_llll,comdat
.Lfunc_end13:
	.size	_ZN2at6native30max_unpooling3d_forward_kernelIsEEvN5torch10headeronly6detail27GenericPackedTensorAccessorINS4_14TensorAccessorIN3c108ArrayRefIlEEKT_Lm3ENS3_16DefaultPtrTraitsElEENS_6detail16IndexBoundsCheckILm4ElEESB_Lm4ESC_lEENS5_INS6_IS9_KlLm3ESC_lEESG_SI_Lm4ESC_lEEPSA_llll, .Lfunc_end13-_ZN2at6native30max_unpooling3d_forward_kernelIsEEvN5torch10headeronly6detail27GenericPackedTensorAccessorINS4_14TensorAccessorIN3c108ArrayRefIlEEKT_Lm3ENS3_16DefaultPtrTraitsElEENS_6detail16IndexBoundsCheckILm4ElEESB_Lm4ESC_lEENS5_INS6_IS9_KlLm3ESC_lEESG_SI_Lm4ESC_lEEPSA_llll
                                        ; -- End function
	.set _ZN2at6native30max_unpooling3d_forward_kernelIsEEvN5torch10headeronly6detail27GenericPackedTensorAccessorINS4_14TensorAccessorIN3c108ArrayRefIlEEKT_Lm3ENS3_16DefaultPtrTraitsElEENS_6detail16IndexBoundsCheckILm4ElEESB_Lm4ESC_lEENS5_INS6_IS9_KlLm3ESC_lEESG_SI_Lm4ESC_lEEPSA_llll.num_vgpr, 8
	.set _ZN2at6native30max_unpooling3d_forward_kernelIsEEvN5torch10headeronly6detail27GenericPackedTensorAccessorINS4_14TensorAccessorIN3c108ArrayRefIlEEKT_Lm3ENS3_16DefaultPtrTraitsElEENS_6detail16IndexBoundsCheckILm4ElEESB_Lm4ESC_lEENS5_INS6_IS9_KlLm3ESC_lEESG_SI_Lm4ESC_lEEPSA_llll.num_agpr, 0
	.set _ZN2at6native30max_unpooling3d_forward_kernelIsEEvN5torch10headeronly6detail27GenericPackedTensorAccessorINS4_14TensorAccessorIN3c108ArrayRefIlEEKT_Lm3ENS3_16DefaultPtrTraitsElEENS_6detail16IndexBoundsCheckILm4ElEESB_Lm4ESC_lEENS5_INS6_IS9_KlLm3ESC_lEESG_SI_Lm4ESC_lEEPSA_llll.numbered_sgpr, 26
	.set _ZN2at6native30max_unpooling3d_forward_kernelIsEEvN5torch10headeronly6detail27GenericPackedTensorAccessorINS4_14TensorAccessorIN3c108ArrayRefIlEEKT_Lm3ENS3_16DefaultPtrTraitsElEENS_6detail16IndexBoundsCheckILm4ElEESB_Lm4ESC_lEENS5_INS6_IS9_KlLm3ESC_lEESG_SI_Lm4ESC_lEEPSA_llll.num_named_barrier, 0
	.set _ZN2at6native30max_unpooling3d_forward_kernelIsEEvN5torch10headeronly6detail27GenericPackedTensorAccessorINS4_14TensorAccessorIN3c108ArrayRefIlEEKT_Lm3ENS3_16DefaultPtrTraitsElEENS_6detail16IndexBoundsCheckILm4ElEESB_Lm4ESC_lEENS5_INS6_IS9_KlLm3ESC_lEESG_SI_Lm4ESC_lEEPSA_llll.private_seg_size, 0
	.set _ZN2at6native30max_unpooling3d_forward_kernelIsEEvN5torch10headeronly6detail27GenericPackedTensorAccessorINS4_14TensorAccessorIN3c108ArrayRefIlEEKT_Lm3ENS3_16DefaultPtrTraitsElEENS_6detail16IndexBoundsCheckILm4ElEESB_Lm4ESC_lEENS5_INS6_IS9_KlLm3ESC_lEESG_SI_Lm4ESC_lEEPSA_llll.uses_vcc, 1
	.set _ZN2at6native30max_unpooling3d_forward_kernelIsEEvN5torch10headeronly6detail27GenericPackedTensorAccessorINS4_14TensorAccessorIN3c108ArrayRefIlEEKT_Lm3ENS3_16DefaultPtrTraitsElEENS_6detail16IndexBoundsCheckILm4ElEESB_Lm4ESC_lEENS5_INS6_IS9_KlLm3ESC_lEESG_SI_Lm4ESC_lEEPSA_llll.uses_flat_scratch, 0
	.set _ZN2at6native30max_unpooling3d_forward_kernelIsEEvN5torch10headeronly6detail27GenericPackedTensorAccessorINS4_14TensorAccessorIN3c108ArrayRefIlEEKT_Lm3ENS3_16DefaultPtrTraitsElEENS_6detail16IndexBoundsCheckILm4ElEESB_Lm4ESC_lEENS5_INS6_IS9_KlLm3ESC_lEESG_SI_Lm4ESC_lEEPSA_llll.has_dyn_sized_stack, 0
	.set _ZN2at6native30max_unpooling3d_forward_kernelIsEEvN5torch10headeronly6detail27GenericPackedTensorAccessorINS4_14TensorAccessorIN3c108ArrayRefIlEEKT_Lm3ENS3_16DefaultPtrTraitsElEENS_6detail16IndexBoundsCheckILm4ElEESB_Lm4ESC_lEENS5_INS6_IS9_KlLm3ESC_lEESG_SI_Lm4ESC_lEEPSA_llll.has_recursion, 0
	.set _ZN2at6native30max_unpooling3d_forward_kernelIsEEvN5torch10headeronly6detail27GenericPackedTensorAccessorINS4_14TensorAccessorIN3c108ArrayRefIlEEKT_Lm3ENS3_16DefaultPtrTraitsElEENS_6detail16IndexBoundsCheckILm4ElEESB_Lm4ESC_lEENS5_INS6_IS9_KlLm3ESC_lEESG_SI_Lm4ESC_lEEPSA_llll.has_indirect_call, 0
	.section	.AMDGPU.csdata,"",@progbits
; Kernel info:
; codeLenInByte = 1260
; TotalNumSgprs: 28
; NumVgprs: 8
; ScratchSize: 0
; MemoryBound: 0
; FloatMode: 240
; IeeeMode: 1
; LDSByteSize: 0 bytes/workgroup (compile time only)
; SGPRBlocks: 0
; VGPRBlocks: 0
; NumSGPRsForWavesPerEU: 28
; NumVGPRsForWavesPerEU: 8
; NamedBarCnt: 0
; Occupancy: 16
; WaveLimiterHint : 1
; COMPUTE_PGM_RSRC2:SCRATCH_EN: 0
; COMPUTE_PGM_RSRC2:USER_SGPR: 2
; COMPUTE_PGM_RSRC2:TRAP_HANDLER: 0
; COMPUTE_PGM_RSRC2:TGID_X_EN: 1
; COMPUTE_PGM_RSRC2:TGID_Y_EN: 1
; COMPUTE_PGM_RSRC2:TGID_Z_EN: 1
; COMPUTE_PGM_RSRC2:TIDIG_COMP_CNT: 1
	.section	.text._ZN2at6native30max_unpooling3d_forward_kernelIdEEvN5torch10headeronly6detail27GenericPackedTensorAccessorINS4_14TensorAccessorIN3c108ArrayRefIlEEKT_Lm3ENS3_16DefaultPtrTraitsElEENS_6detail16IndexBoundsCheckILm4ElEESB_Lm4ESC_lEENS5_INS6_IS9_KlLm3ESC_lEESG_SI_Lm4ESC_lEEPSA_llll,"axG",@progbits,_ZN2at6native30max_unpooling3d_forward_kernelIdEEvN5torch10headeronly6detail27GenericPackedTensorAccessorINS4_14TensorAccessorIN3c108ArrayRefIlEEKT_Lm3ENS3_16DefaultPtrTraitsElEENS_6detail16IndexBoundsCheckILm4ElEESB_Lm4ESC_lEENS5_INS6_IS9_KlLm3ESC_lEESG_SI_Lm4ESC_lEEPSA_llll,comdat
	.protected	_ZN2at6native30max_unpooling3d_forward_kernelIdEEvN5torch10headeronly6detail27GenericPackedTensorAccessorINS4_14TensorAccessorIN3c108ArrayRefIlEEKT_Lm3ENS3_16DefaultPtrTraitsElEENS_6detail16IndexBoundsCheckILm4ElEESB_Lm4ESC_lEENS5_INS6_IS9_KlLm3ESC_lEESG_SI_Lm4ESC_lEEPSA_llll ; -- Begin function _ZN2at6native30max_unpooling3d_forward_kernelIdEEvN5torch10headeronly6detail27GenericPackedTensorAccessorINS4_14TensorAccessorIN3c108ArrayRefIlEEKT_Lm3ENS3_16DefaultPtrTraitsElEENS_6detail16IndexBoundsCheckILm4ElEESB_Lm4ESC_lEENS5_INS6_IS9_KlLm3ESC_lEESG_SI_Lm4ESC_lEEPSA_llll
	.globl	_ZN2at6native30max_unpooling3d_forward_kernelIdEEvN5torch10headeronly6detail27GenericPackedTensorAccessorINS4_14TensorAccessorIN3c108ArrayRefIlEEKT_Lm3ENS3_16DefaultPtrTraitsElEENS_6detail16IndexBoundsCheckILm4ElEESB_Lm4ESC_lEENS5_INS6_IS9_KlLm3ESC_lEESG_SI_Lm4ESC_lEEPSA_llll
	.p2align	8
	.type	_ZN2at6native30max_unpooling3d_forward_kernelIdEEvN5torch10headeronly6detail27GenericPackedTensorAccessorINS4_14TensorAccessorIN3c108ArrayRefIlEEKT_Lm3ENS3_16DefaultPtrTraitsElEENS_6detail16IndexBoundsCheckILm4ElEESB_Lm4ESC_lEENS5_INS6_IS9_KlLm3ESC_lEESG_SI_Lm4ESC_lEEPSA_llll,@function
_ZN2at6native30max_unpooling3d_forward_kernelIdEEvN5torch10headeronly6detail27GenericPackedTensorAccessorINS4_14TensorAccessorIN3c108ArrayRefIlEEKT_Lm3ENS3_16DefaultPtrTraitsElEENS_6detail16IndexBoundsCheckILm4ElEESB_Lm4ESC_lEENS5_INS6_IS9_KlLm3ESC_lEESG_SI_Lm4ESC_lEEPSA_llll: ; @_ZN2at6native30max_unpooling3d_forward_kernelIdEEvN5torch10headeronly6detail27GenericPackedTensorAccessorINS4_14TensorAccessorIN3c108ArrayRefIlEEKT_Lm3ENS3_16DefaultPtrTraitsElEENS_6detail16IndexBoundsCheckILm4ElEESB_Lm4ESC_lEENS5_INS6_IS9_KlLm3ESC_lEESG_SI_Lm4ESC_lEEPSA_llll
; %bb.0:
	s_clause 0x1
	s_load_b64 s[6:7], s[0:1], 0xb0
	s_load_b64 s[4:5], s[0:1], 0x10
	s_bfe_u32 s2, ttmp6, 0x40014
	s_lshr_b32 s8, ttmp7, 16
	s_add_co_i32 s2, s2, 1
	s_bfe_u32 s3, ttmp6, 0x40008
	s_mul_i32 s2, s8, s2
	s_getreg_b32 s14, hwreg(HW_REG_IB_STS2, 6, 4)
	s_add_co_i32 s2, s3, s2
	s_cmp_eq_u32 s14, 0
	s_mov_b32 s3, 0
	s_cselect_b32 s2, s8, s2
	s_wait_kmcnt 0x0
	s_add_nc_u64 s[6:7], s[6:7], s[2:3]
	s_delay_alu instid0(SALU_CYCLE_1) | instskip(NEXT) | instid1(SALU_CYCLE_1)
	s_or_b64 s[8:9], s[6:7], s[4:5]
	s_and_b64 s[8:9], s[8:9], 0xffffffff00000000
	s_delay_alu instid0(SALU_CYCLE_1)
	s_cmp_lg_u64 s[8:9], 0
	s_cbranch_scc0 .LBB14_8
; %bb.1:
	s_ashr_i32 s8, s5, 31
	s_delay_alu instid0(SALU_CYCLE_1) | instskip(NEXT) | instid1(SALU_CYCLE_1)
	s_mov_b32 s9, s8
	s_add_nc_u64 s[10:11], s[4:5], s[8:9]
	s_delay_alu instid0(SALU_CYCLE_1) | instskip(NEXT) | instid1(SALU_CYCLE_1)
	s_xor_b64 s[10:11], s[10:11], s[8:9]
	s_cvt_f32_u32 s2, s10
	s_cvt_f32_u32 s12, s11
	s_sub_nc_u64 s[16:17], 0, s[10:11]
	s_delay_alu instid0(SALU_CYCLE_2) | instskip(NEXT) | instid1(SALU_CYCLE_3)
	s_fmamk_f32 s2, s12, 0x4f800000, s2
	v_s_rcp_f32 s2, s2
	s_delay_alu instid0(TRANS32_DEP_1) | instskip(NEXT) | instid1(SALU_CYCLE_3)
	s_mul_f32 s2, s2, 0x5f7ffffc
	s_mul_f32 s12, s2, 0x2f800000
	s_delay_alu instid0(SALU_CYCLE_3) | instskip(NEXT) | instid1(SALU_CYCLE_3)
	s_trunc_f32 s12, s12
	s_fmamk_f32 s2, s12, 0xcf800000, s2
	s_cvt_u32_f32 s13, s12
	s_delay_alu instid0(SALU_CYCLE_2) | instskip(NEXT) | instid1(SALU_CYCLE_3)
	s_cvt_u32_f32 s12, s2
	s_mul_u64 s[18:19], s[16:17], s[12:13]
	s_delay_alu instid0(SALU_CYCLE_1)
	s_mul_hi_u32 s21, s12, s19
	s_mul_i32 s20, s12, s19
	s_mul_hi_u32 s2, s12, s18
	s_mul_i32 s22, s13, s18
	s_add_nc_u64 s[20:21], s[2:3], s[20:21]
	s_mul_hi_u32 s15, s13, s18
	s_mul_hi_u32 s23, s13, s19
	s_add_co_u32 s2, s20, s22
	s_add_co_ci_u32 s2, s21, s15
	s_mul_i32 s18, s13, s19
	s_add_co_ci_u32 s19, s23, 0
	s_delay_alu instid0(SALU_CYCLE_1) | instskip(NEXT) | instid1(SALU_CYCLE_1)
	s_add_nc_u64 s[18:19], s[2:3], s[18:19]
	s_add_co_u32 s12, s12, s18
	s_cselect_b32 s2, -1, 0
	s_delay_alu instid0(SALU_CYCLE_1) | instskip(SKIP_1) | instid1(SALU_CYCLE_1)
	s_cmp_lg_u32 s2, 0
	s_add_co_ci_u32 s13, s13, s19
	s_mul_u64 s[16:17], s[16:17], s[12:13]
	s_delay_alu instid0(SALU_CYCLE_1)
	s_mul_hi_u32 s19, s12, s17
	s_mul_i32 s18, s12, s17
	s_mul_hi_u32 s2, s12, s16
	s_mul_i32 s20, s13, s16
	s_add_nc_u64 s[18:19], s[2:3], s[18:19]
	s_mul_hi_u32 s15, s13, s16
	s_mul_hi_u32 s21, s13, s17
	s_add_co_u32 s2, s18, s20
	s_add_co_ci_u32 s2, s19, s15
	s_mul_i32 s16, s13, s17
	s_add_co_ci_u32 s17, s21, 0
	s_delay_alu instid0(SALU_CYCLE_1) | instskip(NEXT) | instid1(SALU_CYCLE_1)
	s_add_nc_u64 s[16:17], s[2:3], s[16:17]
	s_add_co_u32 s15, s12, s16
	s_cselect_b32 s2, -1, 0
	s_delay_alu instid0(SALU_CYCLE_1) | instskip(SKIP_2) | instid1(SALU_CYCLE_1)
	s_cmp_lg_u32 s2, 0
	s_add_co_ci_u32 s20, s13, s17
	s_ashr_i32 s12, s7, 31
	s_mov_b32 s13, s12
	s_delay_alu instid0(SALU_CYCLE_1) | instskip(NEXT) | instid1(SALU_CYCLE_1)
	s_add_nc_u64 s[16:17], s[6:7], s[12:13]
	s_xor_b64 s[16:17], s[16:17], s[12:13]
	s_delay_alu instid0(SALU_CYCLE_1)
	s_mul_hi_u32 s19, s16, s20
	s_mul_i32 s18, s16, s20
	s_mul_hi_u32 s2, s16, s15
	s_mul_hi_u32 s22, s17, s15
	s_mul_i32 s15, s17, s15
	s_add_nc_u64 s[18:19], s[2:3], s[18:19]
	s_mul_hi_u32 s21, s17, s20
	s_add_co_u32 s2, s18, s15
	s_add_co_ci_u32 s2, s19, s22
	s_mul_i32 s20, s17, s20
	s_add_co_ci_u32 s21, s21, 0
	s_delay_alu instid0(SALU_CYCLE_1) | instskip(NEXT) | instid1(SALU_CYCLE_1)
	s_add_nc_u64 s[18:19], s[2:3], s[20:21]
	s_and_b64 s[20:21], s[18:19], 0xffffffff00000000
	s_delay_alu instid0(SALU_CYCLE_1) | instskip(NEXT) | instid1(SALU_CYCLE_1)
	s_or_b32 s20, s20, s18
	s_mul_u64 s[18:19], s[10:11], s[20:21]
	s_delay_alu instid0(SALU_CYCLE_1)
	s_sub_co_u32 s2, s16, s18
	s_cselect_b32 s15, -1, 0
	s_sub_co_i32 s16, s17, s19
	s_cmp_lg_u32 s15, 0
	s_sub_co_ci_u32 s16, s16, s11
	s_sub_co_u32 s18, s2, s10
	s_cselect_b32 s22, -1, 0
	s_delay_alu instid0(SALU_CYCLE_1) | instskip(SKIP_2) | instid1(SALU_CYCLE_1)
	s_cmp_lg_u32 s22, 0
	s_add_nc_u64 s[22:23], s[20:21], 1
	s_sub_co_ci_u32 s16, s16, 0
	s_cmp_ge_u32 s16, s11
	s_cselect_b32 s24, -1, 0
	s_cmp_ge_u32 s18, s10
	s_cselect_b32 s18, -1, 0
	s_cmp_eq_u32 s16, s11
	s_cselect_b32 s16, s18, s24
	s_add_nc_u64 s[24:25], s[20:21], 2
	s_cmp_lg_u32 s16, 0
	s_cselect_b32 s16, s24, s22
	s_cselect_b32 s18, s25, s23
	s_cmp_lg_u32 s15, 0
	s_sub_co_ci_u32 s15, s17, s19
	s_delay_alu instid0(SALU_CYCLE_1)
	s_cmp_ge_u32 s15, s11
	s_cselect_b32 s17, -1, 0
	s_cmp_ge_u32 s2, s10
	s_cselect_b32 s2, -1, 0
	s_cmp_eq_u32 s15, s11
	s_cselect_b32 s2, s2, s17
	s_delay_alu instid0(SALU_CYCLE_1) | instskip(SKIP_3) | instid1(SALU_CYCLE_1)
	s_cmp_lg_u32 s2, 0
	s_cselect_b32 s11, s18, s21
	s_cselect_b32 s10, s16, s20
	s_xor_b64 s[8:9], s[12:13], s[8:9]
	s_xor_b64 s[10:11], s[10:11], s[8:9]
	s_delay_alu instid0(SALU_CYCLE_1)
	s_sub_nc_u64 s[12:13], s[10:11], s[8:9]
	s_load_b32 s2, s[0:1], 0xc4
	s_and_not1_b32 vcc_lo, exec_lo, s3
	s_cbranch_vccnz .LBB14_3
.LBB14_2:
	v_cvt_f32_u32_e32 v1, s4
	s_sub_co_i32 s8, 0, s4
	s_mov_b32 s13, 0
	s_delay_alu instid0(VALU_DEP_1) | instskip(SKIP_1) | instid1(TRANS32_DEP_1)
	v_rcp_iflag_f32_e32 v1, v1
	v_nop
	v_mul_f32_e32 v1, 0x4f7ffffe, v1
	s_delay_alu instid0(VALU_DEP_1) | instskip(NEXT) | instid1(VALU_DEP_1)
	v_cvt_u32_f32_e32 v1, v1
	v_readfirstlane_b32 s3, v1
	s_mul_i32 s8, s8, s3
	s_delay_alu instid0(SALU_CYCLE_1) | instskip(NEXT) | instid1(SALU_CYCLE_1)
	s_mul_hi_u32 s8, s3, s8
	s_add_co_i32 s3, s3, s8
	s_delay_alu instid0(SALU_CYCLE_1) | instskip(NEXT) | instid1(SALU_CYCLE_1)
	s_mul_hi_u32 s3, s6, s3
	s_mul_i32 s8, s3, s4
	s_add_co_i32 s9, s3, 1
	s_sub_co_i32 s8, s6, s8
	s_delay_alu instid0(SALU_CYCLE_1)
	s_sub_co_i32 s10, s8, s4
	s_cmp_ge_u32 s8, s4
	s_cselect_b32 s3, s9, s3
	s_cselect_b32 s8, s10, s8
	s_add_co_i32 s9, s3, 1
	s_cmp_ge_u32 s8, s4
	s_cselect_b32 s12, s9, s3
.LBB14_3:
	s_bfe_u32 s8, ttmp6, 0x40010
	s_and_b32 s15, ttmp7, 0xffff
	s_add_co_i32 s8, s8, 1
	s_bfe_u32 s17, ttmp6, 0x40004
	s_mul_i32 s16, s15, s8
	s_bfe_u32 s8, ttmp6, 0x4000c
	s_and_b32 s18, ttmp6, 15
	s_add_co_i32 s8, s8, 1
	s_wait_kmcnt 0x0
	s_lshr_b32 s3, s2, 16
	s_mul_i32 s19, ttmp9, s8
	s_load_b128 s[8:11], s[0:1], 0x18
	v_and_b32_e32 v2, 0x3ff, v0
	v_mov_b32_e32 v3, 0
	s_and_b32 s2, s2, 0xffff
	s_add_co_i32 s17, s17, s16
	s_add_co_i32 s18, s18, s19
	v_bfe_u32 v4, v0, 10, 10
	s_cmp_eq_u32 s14, 0
	s_cselect_b32 s14, ttmp9, s18
	s_cselect_b32 s15, s15, s17
	v_mad_nc_u64_u32 v[0:1], s2, s14, v[2:3]
	v_mad_u32 v2, s15, s3, v4
	s_wait_kmcnt 0x0
	s_delay_alu instid0(VALU_DEP_2) | instskip(NEXT) | instid1(VALU_DEP_2)
	v_cmp_gt_i64_e64 s2, s[10:11], v[0:1]
	v_cmp_gt_i64_e32 vcc_lo, s[8:9], v[2:3]
	s_and_b32 s2, vcc_lo, s2
	s_delay_alu instid0(SALU_CYCLE_1)
	s_and_saveexec_b32 s3, s2
	s_cbranch_execz .LBB14_7
; %bb.4:
	s_clause 0x1
	s_load_b256 s[16:23], s[0:1], 0x70
	s_load_b64 s[2:3], s[0:1], 0x48
	s_mul_u64 s[4:5], s[12:13], s[4:5]
	s_delay_alu instid0(SALU_CYCLE_1)
	s_sub_nc_u64 s[14:15], s[6:7], s[4:5]
	s_wait_kmcnt 0x0
	v_mul_u64_e32 v[4:5], s[20:21], v[2:3]
	v_mul_u64_e32 v[6:7], s[22:23], v[0:1]
	s_mul_u64 s[4:5], s[16:17], s[12:13]
	s_mul_u64 s[6:7], s[18:19], s[14:15]
	s_lshl_b64 s[4:5], s[4:5], 3
	s_lshl_b64 s[6:7], s[6:7], 3
	s_add_nc_u64 s[2:3], s[2:3], s[4:5]
	s_delay_alu instid0(SALU_CYCLE_1) | instskip(SKIP_1) | instid1(VALU_DEP_2)
	s_add_nc_u64 s[2:3], s[2:3], s[6:7]
	s_load_b256 s[4:11], s[0:1], 0x90
	v_lshl_add_u64 v[4:5], v[4:5], 3, s[2:3]
	s_wait_kmcnt 0x0
	s_mul_u64 s[2:3], s[8:9], s[6:7]
	s_delay_alu instid0(SALU_CYCLE_1) | instskip(NEXT) | instid1(VALU_DEP_1)
	s_mul_u64 s[6:7], s[2:3], s[10:11]
	v_lshl_add_u64 v[4:5], v[6:7], 3, v[4:5]
	global_load_b64 v[4:5], v[4:5], off
	s_wait_loadcnt 0x0
	v_cmp_lt_i64_e32 vcc_lo, -1, v[4:5]
	v_cmp_gt_i64_e64 s2, s[6:7], v[4:5]
	s_and_b32 s2, vcc_lo, s2
	s_delay_alu instid0(SALU_CYCLE_1) | instskip(NEXT) | instid1(SALU_CYCLE_1)
	s_and_saveexec_b32 s3, s2
	s_xor_b32 s2, exec_lo, s3
	s_cbranch_execz .LBB14_6
; %bb.5:
	s_load_b256 s[16:23], s[0:1], 0x28
	s_wait_kmcnt 0x0
	v_mul_u64_e32 v[2:3], s[20:21], v[2:3]
	v_mul_u64_e32 v[0:1], s[22:23], v[0:1]
	s_load_b64 s[0:1], s[0:1], 0x0
	s_mul_u64 s[8:9], s[16:17], s[12:13]
	s_mul_u64 s[10:11], s[18:19], s[14:15]
	s_lshl_b64 s[8:9], s[8:9], 3
	s_wait_kmcnt 0x0
	s_add_nc_u64 s[0:1], s[0:1], s[8:9]
	s_lshl_b64 s[8:9], s[10:11], 3
	s_delay_alu instid0(SALU_CYCLE_1)
	s_add_nc_u64 s[0:1], s[0:1], s[8:9]
	s_delay_alu instid0(VALU_DEP_2) | instid1(SALU_CYCLE_1)
	v_lshl_add_u64 v[2:3], v[2:3], 3, s[0:1]
	s_mul_u64 s[0:1], s[6:7], s[12:13]
	s_delay_alu instid0(SALU_CYCLE_1) | instskip(NEXT) | instid1(SALU_CYCLE_1)
	s_lshl_b64 s[0:1], s[0:1], 3
	s_add_nc_u64 s[0:1], s[4:5], s[0:1]
	s_delay_alu instid0(VALU_DEP_1)
	v_lshl_add_u64 v[0:1], v[0:1], 3, v[2:3]
	v_lshl_add_u64 v[2:3], v[4:5], 3, s[0:1]
	global_load_b64 v[0:1], v[0:1], off
	s_wait_loadcnt 0x0
	global_store_b64 v[2:3], v[0:1], off
.LBB14_6:
	s_wait_xcnt 0x0
	s_and_not1_saveexec_b32 s0, s2
	s_cbranch_execnz .LBB14_9
.LBB14_7:
	s_endpgm
.LBB14_8:
                                        ; implicit-def: $sgpr12_sgpr13
	s_load_b32 s2, s[0:1], 0xc4
	s_branch .LBB14_2
.LBB14_9:
	s_trap 2
	; divergent unreachable
	s_endpgm
	.section	.rodata,"a",@progbits
	.p2align	6, 0x0
	.amdhsa_kernel _ZN2at6native30max_unpooling3d_forward_kernelIdEEvN5torch10headeronly6detail27GenericPackedTensorAccessorINS4_14TensorAccessorIN3c108ArrayRefIlEEKT_Lm3ENS3_16DefaultPtrTraitsElEENS_6detail16IndexBoundsCheckILm4ElEESB_Lm4ESC_lEENS5_INS6_IS9_KlLm3ESC_lEESG_SI_Lm4ESC_lEEPSA_llll
		.amdhsa_group_segment_fixed_size 0
		.amdhsa_private_segment_fixed_size 0
		.amdhsa_kernarg_size 440
		.amdhsa_user_sgpr_count 2
		.amdhsa_user_sgpr_dispatch_ptr 0
		.amdhsa_user_sgpr_queue_ptr 0
		.amdhsa_user_sgpr_kernarg_segment_ptr 1
		.amdhsa_user_sgpr_dispatch_id 0
		.amdhsa_user_sgpr_kernarg_preload_length 0
		.amdhsa_user_sgpr_kernarg_preload_offset 0
		.amdhsa_user_sgpr_private_segment_size 0
		.amdhsa_wavefront_size32 1
		.amdhsa_uses_dynamic_stack 0
		.amdhsa_enable_private_segment 0
		.amdhsa_system_sgpr_workgroup_id_x 1
		.amdhsa_system_sgpr_workgroup_id_y 1
		.amdhsa_system_sgpr_workgroup_id_z 1
		.amdhsa_system_sgpr_workgroup_info 0
		.amdhsa_system_vgpr_workitem_id 1
		.amdhsa_next_free_vgpr 8
		.amdhsa_next_free_sgpr 26
		.amdhsa_named_barrier_count 0
		.amdhsa_reserve_vcc 1
		.amdhsa_float_round_mode_32 0
		.amdhsa_float_round_mode_16_64 0
		.amdhsa_float_denorm_mode_32 3
		.amdhsa_float_denorm_mode_16_64 3
		.amdhsa_fp16_overflow 0
		.amdhsa_memory_ordered 1
		.amdhsa_forward_progress 1
		.amdhsa_inst_pref_size 10
		.amdhsa_round_robin_scheduling 0
		.amdhsa_exception_fp_ieee_invalid_op 0
		.amdhsa_exception_fp_denorm_src 0
		.amdhsa_exception_fp_ieee_div_zero 0
		.amdhsa_exception_fp_ieee_overflow 0
		.amdhsa_exception_fp_ieee_underflow 0
		.amdhsa_exception_fp_ieee_inexact 0
		.amdhsa_exception_int_div_zero 0
	.end_amdhsa_kernel
	.section	.text._ZN2at6native30max_unpooling3d_forward_kernelIdEEvN5torch10headeronly6detail27GenericPackedTensorAccessorINS4_14TensorAccessorIN3c108ArrayRefIlEEKT_Lm3ENS3_16DefaultPtrTraitsElEENS_6detail16IndexBoundsCheckILm4ElEESB_Lm4ESC_lEENS5_INS6_IS9_KlLm3ESC_lEESG_SI_Lm4ESC_lEEPSA_llll,"axG",@progbits,_ZN2at6native30max_unpooling3d_forward_kernelIdEEvN5torch10headeronly6detail27GenericPackedTensorAccessorINS4_14TensorAccessorIN3c108ArrayRefIlEEKT_Lm3ENS3_16DefaultPtrTraitsElEENS_6detail16IndexBoundsCheckILm4ElEESB_Lm4ESC_lEENS5_INS6_IS9_KlLm3ESC_lEESG_SI_Lm4ESC_lEEPSA_llll,comdat
.Lfunc_end14:
	.size	_ZN2at6native30max_unpooling3d_forward_kernelIdEEvN5torch10headeronly6detail27GenericPackedTensorAccessorINS4_14TensorAccessorIN3c108ArrayRefIlEEKT_Lm3ENS3_16DefaultPtrTraitsElEENS_6detail16IndexBoundsCheckILm4ElEESB_Lm4ESC_lEENS5_INS6_IS9_KlLm3ESC_lEESG_SI_Lm4ESC_lEEPSA_llll, .Lfunc_end14-_ZN2at6native30max_unpooling3d_forward_kernelIdEEvN5torch10headeronly6detail27GenericPackedTensorAccessorINS4_14TensorAccessorIN3c108ArrayRefIlEEKT_Lm3ENS3_16DefaultPtrTraitsElEENS_6detail16IndexBoundsCheckILm4ElEESB_Lm4ESC_lEENS5_INS6_IS9_KlLm3ESC_lEESG_SI_Lm4ESC_lEEPSA_llll
                                        ; -- End function
	.set _ZN2at6native30max_unpooling3d_forward_kernelIdEEvN5torch10headeronly6detail27GenericPackedTensorAccessorINS4_14TensorAccessorIN3c108ArrayRefIlEEKT_Lm3ENS3_16DefaultPtrTraitsElEENS_6detail16IndexBoundsCheckILm4ElEESB_Lm4ESC_lEENS5_INS6_IS9_KlLm3ESC_lEESG_SI_Lm4ESC_lEEPSA_llll.num_vgpr, 8
	.set _ZN2at6native30max_unpooling3d_forward_kernelIdEEvN5torch10headeronly6detail27GenericPackedTensorAccessorINS4_14TensorAccessorIN3c108ArrayRefIlEEKT_Lm3ENS3_16DefaultPtrTraitsElEENS_6detail16IndexBoundsCheckILm4ElEESB_Lm4ESC_lEENS5_INS6_IS9_KlLm3ESC_lEESG_SI_Lm4ESC_lEEPSA_llll.num_agpr, 0
	.set _ZN2at6native30max_unpooling3d_forward_kernelIdEEvN5torch10headeronly6detail27GenericPackedTensorAccessorINS4_14TensorAccessorIN3c108ArrayRefIlEEKT_Lm3ENS3_16DefaultPtrTraitsElEENS_6detail16IndexBoundsCheckILm4ElEESB_Lm4ESC_lEENS5_INS6_IS9_KlLm3ESC_lEESG_SI_Lm4ESC_lEEPSA_llll.numbered_sgpr, 26
	.set _ZN2at6native30max_unpooling3d_forward_kernelIdEEvN5torch10headeronly6detail27GenericPackedTensorAccessorINS4_14TensorAccessorIN3c108ArrayRefIlEEKT_Lm3ENS3_16DefaultPtrTraitsElEENS_6detail16IndexBoundsCheckILm4ElEESB_Lm4ESC_lEENS5_INS6_IS9_KlLm3ESC_lEESG_SI_Lm4ESC_lEEPSA_llll.num_named_barrier, 0
	.set _ZN2at6native30max_unpooling3d_forward_kernelIdEEvN5torch10headeronly6detail27GenericPackedTensorAccessorINS4_14TensorAccessorIN3c108ArrayRefIlEEKT_Lm3ENS3_16DefaultPtrTraitsElEENS_6detail16IndexBoundsCheckILm4ElEESB_Lm4ESC_lEENS5_INS6_IS9_KlLm3ESC_lEESG_SI_Lm4ESC_lEEPSA_llll.private_seg_size, 0
	.set _ZN2at6native30max_unpooling3d_forward_kernelIdEEvN5torch10headeronly6detail27GenericPackedTensorAccessorINS4_14TensorAccessorIN3c108ArrayRefIlEEKT_Lm3ENS3_16DefaultPtrTraitsElEENS_6detail16IndexBoundsCheckILm4ElEESB_Lm4ESC_lEENS5_INS6_IS9_KlLm3ESC_lEESG_SI_Lm4ESC_lEEPSA_llll.uses_vcc, 1
	.set _ZN2at6native30max_unpooling3d_forward_kernelIdEEvN5torch10headeronly6detail27GenericPackedTensorAccessorINS4_14TensorAccessorIN3c108ArrayRefIlEEKT_Lm3ENS3_16DefaultPtrTraitsElEENS_6detail16IndexBoundsCheckILm4ElEESB_Lm4ESC_lEENS5_INS6_IS9_KlLm3ESC_lEESG_SI_Lm4ESC_lEEPSA_llll.uses_flat_scratch, 0
	.set _ZN2at6native30max_unpooling3d_forward_kernelIdEEvN5torch10headeronly6detail27GenericPackedTensorAccessorINS4_14TensorAccessorIN3c108ArrayRefIlEEKT_Lm3ENS3_16DefaultPtrTraitsElEENS_6detail16IndexBoundsCheckILm4ElEESB_Lm4ESC_lEENS5_INS6_IS9_KlLm3ESC_lEESG_SI_Lm4ESC_lEEPSA_llll.has_dyn_sized_stack, 0
	.set _ZN2at6native30max_unpooling3d_forward_kernelIdEEvN5torch10headeronly6detail27GenericPackedTensorAccessorINS4_14TensorAccessorIN3c108ArrayRefIlEEKT_Lm3ENS3_16DefaultPtrTraitsElEENS_6detail16IndexBoundsCheckILm4ElEESB_Lm4ESC_lEENS5_INS6_IS9_KlLm3ESC_lEESG_SI_Lm4ESC_lEEPSA_llll.has_recursion, 0
	.set _ZN2at6native30max_unpooling3d_forward_kernelIdEEvN5torch10headeronly6detail27GenericPackedTensorAccessorINS4_14TensorAccessorIN3c108ArrayRefIlEEKT_Lm3ENS3_16DefaultPtrTraitsElEENS_6detail16IndexBoundsCheckILm4ElEESB_Lm4ESC_lEENS5_INS6_IS9_KlLm3ESC_lEESG_SI_Lm4ESC_lEEPSA_llll.has_indirect_call, 0
	.section	.AMDGPU.csdata,"",@progbits
; Kernel info:
; codeLenInByte = 1256
; TotalNumSgprs: 28
; NumVgprs: 8
; ScratchSize: 0
; MemoryBound: 0
; FloatMode: 240
; IeeeMode: 1
; LDSByteSize: 0 bytes/workgroup (compile time only)
; SGPRBlocks: 0
; VGPRBlocks: 0
; NumSGPRsForWavesPerEU: 28
; NumVGPRsForWavesPerEU: 8
; NamedBarCnt: 0
; Occupancy: 16
; WaveLimiterHint : 1
; COMPUTE_PGM_RSRC2:SCRATCH_EN: 0
; COMPUTE_PGM_RSRC2:USER_SGPR: 2
; COMPUTE_PGM_RSRC2:TRAP_HANDLER: 0
; COMPUTE_PGM_RSRC2:TGID_X_EN: 1
; COMPUTE_PGM_RSRC2:TGID_Y_EN: 1
; COMPUTE_PGM_RSRC2:TGID_Z_EN: 1
; COMPUTE_PGM_RSRC2:TIDIG_COMP_CNT: 1
	.section	.text._ZN2at6native30max_unpooling3d_forward_kernelIfEEvN5torch10headeronly6detail27GenericPackedTensorAccessorINS4_14TensorAccessorIN3c108ArrayRefIlEEKT_Lm3ENS3_16DefaultPtrTraitsElEENS_6detail16IndexBoundsCheckILm4ElEESB_Lm4ESC_lEENS5_INS6_IS9_KlLm3ESC_lEESG_SI_Lm4ESC_lEEPSA_llll,"axG",@progbits,_ZN2at6native30max_unpooling3d_forward_kernelIfEEvN5torch10headeronly6detail27GenericPackedTensorAccessorINS4_14TensorAccessorIN3c108ArrayRefIlEEKT_Lm3ENS3_16DefaultPtrTraitsElEENS_6detail16IndexBoundsCheckILm4ElEESB_Lm4ESC_lEENS5_INS6_IS9_KlLm3ESC_lEESG_SI_Lm4ESC_lEEPSA_llll,comdat
	.protected	_ZN2at6native30max_unpooling3d_forward_kernelIfEEvN5torch10headeronly6detail27GenericPackedTensorAccessorINS4_14TensorAccessorIN3c108ArrayRefIlEEKT_Lm3ENS3_16DefaultPtrTraitsElEENS_6detail16IndexBoundsCheckILm4ElEESB_Lm4ESC_lEENS5_INS6_IS9_KlLm3ESC_lEESG_SI_Lm4ESC_lEEPSA_llll ; -- Begin function _ZN2at6native30max_unpooling3d_forward_kernelIfEEvN5torch10headeronly6detail27GenericPackedTensorAccessorINS4_14TensorAccessorIN3c108ArrayRefIlEEKT_Lm3ENS3_16DefaultPtrTraitsElEENS_6detail16IndexBoundsCheckILm4ElEESB_Lm4ESC_lEENS5_INS6_IS9_KlLm3ESC_lEESG_SI_Lm4ESC_lEEPSA_llll
	.globl	_ZN2at6native30max_unpooling3d_forward_kernelIfEEvN5torch10headeronly6detail27GenericPackedTensorAccessorINS4_14TensorAccessorIN3c108ArrayRefIlEEKT_Lm3ENS3_16DefaultPtrTraitsElEENS_6detail16IndexBoundsCheckILm4ElEESB_Lm4ESC_lEENS5_INS6_IS9_KlLm3ESC_lEESG_SI_Lm4ESC_lEEPSA_llll
	.p2align	8
	.type	_ZN2at6native30max_unpooling3d_forward_kernelIfEEvN5torch10headeronly6detail27GenericPackedTensorAccessorINS4_14TensorAccessorIN3c108ArrayRefIlEEKT_Lm3ENS3_16DefaultPtrTraitsElEENS_6detail16IndexBoundsCheckILm4ElEESB_Lm4ESC_lEENS5_INS6_IS9_KlLm3ESC_lEESG_SI_Lm4ESC_lEEPSA_llll,@function
_ZN2at6native30max_unpooling3d_forward_kernelIfEEvN5torch10headeronly6detail27GenericPackedTensorAccessorINS4_14TensorAccessorIN3c108ArrayRefIlEEKT_Lm3ENS3_16DefaultPtrTraitsElEENS_6detail16IndexBoundsCheckILm4ElEESB_Lm4ESC_lEENS5_INS6_IS9_KlLm3ESC_lEESG_SI_Lm4ESC_lEEPSA_llll: ; @_ZN2at6native30max_unpooling3d_forward_kernelIfEEvN5torch10headeronly6detail27GenericPackedTensorAccessorINS4_14TensorAccessorIN3c108ArrayRefIlEEKT_Lm3ENS3_16DefaultPtrTraitsElEENS_6detail16IndexBoundsCheckILm4ElEESB_Lm4ESC_lEENS5_INS6_IS9_KlLm3ESC_lEESG_SI_Lm4ESC_lEEPSA_llll
; %bb.0:
	s_clause 0x1
	s_load_b64 s[6:7], s[0:1], 0xb0
	s_load_b64 s[4:5], s[0:1], 0x10
	s_bfe_u32 s2, ttmp6, 0x40014
	s_lshr_b32 s8, ttmp7, 16
	s_add_co_i32 s2, s2, 1
	s_bfe_u32 s3, ttmp6, 0x40008
	s_mul_i32 s2, s8, s2
	s_getreg_b32 s14, hwreg(HW_REG_IB_STS2, 6, 4)
	s_add_co_i32 s2, s3, s2
	s_cmp_eq_u32 s14, 0
	s_mov_b32 s3, 0
	s_cselect_b32 s2, s8, s2
	s_wait_kmcnt 0x0
	s_add_nc_u64 s[6:7], s[6:7], s[2:3]
	s_delay_alu instid0(SALU_CYCLE_1) | instskip(NEXT) | instid1(SALU_CYCLE_1)
	s_or_b64 s[8:9], s[6:7], s[4:5]
	s_and_b64 s[8:9], s[8:9], 0xffffffff00000000
	s_delay_alu instid0(SALU_CYCLE_1)
	s_cmp_lg_u64 s[8:9], 0
	s_cbranch_scc0 .LBB15_8
; %bb.1:
	s_ashr_i32 s8, s5, 31
	s_delay_alu instid0(SALU_CYCLE_1) | instskip(NEXT) | instid1(SALU_CYCLE_1)
	s_mov_b32 s9, s8
	s_add_nc_u64 s[10:11], s[4:5], s[8:9]
	s_delay_alu instid0(SALU_CYCLE_1) | instskip(NEXT) | instid1(SALU_CYCLE_1)
	s_xor_b64 s[10:11], s[10:11], s[8:9]
	s_cvt_f32_u32 s2, s10
	s_cvt_f32_u32 s12, s11
	s_sub_nc_u64 s[16:17], 0, s[10:11]
	s_delay_alu instid0(SALU_CYCLE_2) | instskip(NEXT) | instid1(SALU_CYCLE_3)
	s_fmamk_f32 s2, s12, 0x4f800000, s2
	v_s_rcp_f32 s2, s2
	s_delay_alu instid0(TRANS32_DEP_1) | instskip(NEXT) | instid1(SALU_CYCLE_3)
	s_mul_f32 s2, s2, 0x5f7ffffc
	s_mul_f32 s12, s2, 0x2f800000
	s_delay_alu instid0(SALU_CYCLE_3) | instskip(NEXT) | instid1(SALU_CYCLE_3)
	s_trunc_f32 s12, s12
	s_fmamk_f32 s2, s12, 0xcf800000, s2
	s_cvt_u32_f32 s13, s12
	s_delay_alu instid0(SALU_CYCLE_2) | instskip(NEXT) | instid1(SALU_CYCLE_3)
	s_cvt_u32_f32 s12, s2
	s_mul_u64 s[18:19], s[16:17], s[12:13]
	s_delay_alu instid0(SALU_CYCLE_1)
	s_mul_hi_u32 s21, s12, s19
	s_mul_i32 s20, s12, s19
	s_mul_hi_u32 s2, s12, s18
	s_mul_i32 s22, s13, s18
	s_add_nc_u64 s[20:21], s[2:3], s[20:21]
	s_mul_hi_u32 s15, s13, s18
	s_mul_hi_u32 s23, s13, s19
	s_add_co_u32 s2, s20, s22
	s_add_co_ci_u32 s2, s21, s15
	s_mul_i32 s18, s13, s19
	s_add_co_ci_u32 s19, s23, 0
	s_delay_alu instid0(SALU_CYCLE_1) | instskip(NEXT) | instid1(SALU_CYCLE_1)
	s_add_nc_u64 s[18:19], s[2:3], s[18:19]
	s_add_co_u32 s12, s12, s18
	s_cselect_b32 s2, -1, 0
	s_delay_alu instid0(SALU_CYCLE_1) | instskip(SKIP_1) | instid1(SALU_CYCLE_1)
	s_cmp_lg_u32 s2, 0
	s_add_co_ci_u32 s13, s13, s19
	s_mul_u64 s[16:17], s[16:17], s[12:13]
	s_delay_alu instid0(SALU_CYCLE_1)
	s_mul_hi_u32 s19, s12, s17
	s_mul_i32 s18, s12, s17
	s_mul_hi_u32 s2, s12, s16
	s_mul_i32 s20, s13, s16
	s_add_nc_u64 s[18:19], s[2:3], s[18:19]
	s_mul_hi_u32 s15, s13, s16
	s_mul_hi_u32 s21, s13, s17
	s_add_co_u32 s2, s18, s20
	s_add_co_ci_u32 s2, s19, s15
	s_mul_i32 s16, s13, s17
	s_add_co_ci_u32 s17, s21, 0
	s_delay_alu instid0(SALU_CYCLE_1) | instskip(NEXT) | instid1(SALU_CYCLE_1)
	s_add_nc_u64 s[16:17], s[2:3], s[16:17]
	s_add_co_u32 s15, s12, s16
	s_cselect_b32 s2, -1, 0
	s_delay_alu instid0(SALU_CYCLE_1) | instskip(SKIP_2) | instid1(SALU_CYCLE_1)
	s_cmp_lg_u32 s2, 0
	s_add_co_ci_u32 s20, s13, s17
	s_ashr_i32 s12, s7, 31
	s_mov_b32 s13, s12
	s_delay_alu instid0(SALU_CYCLE_1) | instskip(NEXT) | instid1(SALU_CYCLE_1)
	s_add_nc_u64 s[16:17], s[6:7], s[12:13]
	s_xor_b64 s[16:17], s[16:17], s[12:13]
	s_delay_alu instid0(SALU_CYCLE_1)
	s_mul_hi_u32 s19, s16, s20
	s_mul_i32 s18, s16, s20
	s_mul_hi_u32 s2, s16, s15
	s_mul_hi_u32 s22, s17, s15
	s_mul_i32 s15, s17, s15
	s_add_nc_u64 s[18:19], s[2:3], s[18:19]
	s_mul_hi_u32 s21, s17, s20
	s_add_co_u32 s2, s18, s15
	s_add_co_ci_u32 s2, s19, s22
	s_mul_i32 s20, s17, s20
	s_add_co_ci_u32 s21, s21, 0
	s_delay_alu instid0(SALU_CYCLE_1) | instskip(NEXT) | instid1(SALU_CYCLE_1)
	s_add_nc_u64 s[18:19], s[2:3], s[20:21]
	s_and_b64 s[20:21], s[18:19], 0xffffffff00000000
	s_delay_alu instid0(SALU_CYCLE_1) | instskip(NEXT) | instid1(SALU_CYCLE_1)
	s_or_b32 s20, s20, s18
	s_mul_u64 s[18:19], s[10:11], s[20:21]
	s_delay_alu instid0(SALU_CYCLE_1)
	s_sub_co_u32 s2, s16, s18
	s_cselect_b32 s15, -1, 0
	s_sub_co_i32 s16, s17, s19
	s_cmp_lg_u32 s15, 0
	s_sub_co_ci_u32 s16, s16, s11
	s_sub_co_u32 s18, s2, s10
	s_cselect_b32 s22, -1, 0
	s_delay_alu instid0(SALU_CYCLE_1) | instskip(SKIP_2) | instid1(SALU_CYCLE_1)
	s_cmp_lg_u32 s22, 0
	s_add_nc_u64 s[22:23], s[20:21], 1
	s_sub_co_ci_u32 s16, s16, 0
	s_cmp_ge_u32 s16, s11
	s_cselect_b32 s24, -1, 0
	s_cmp_ge_u32 s18, s10
	s_cselect_b32 s18, -1, 0
	s_cmp_eq_u32 s16, s11
	s_cselect_b32 s16, s18, s24
	s_add_nc_u64 s[24:25], s[20:21], 2
	s_cmp_lg_u32 s16, 0
	s_cselect_b32 s16, s24, s22
	s_cselect_b32 s18, s25, s23
	s_cmp_lg_u32 s15, 0
	s_sub_co_ci_u32 s15, s17, s19
	s_delay_alu instid0(SALU_CYCLE_1)
	s_cmp_ge_u32 s15, s11
	s_cselect_b32 s17, -1, 0
	s_cmp_ge_u32 s2, s10
	s_cselect_b32 s2, -1, 0
	s_cmp_eq_u32 s15, s11
	s_cselect_b32 s2, s2, s17
	s_delay_alu instid0(SALU_CYCLE_1) | instskip(SKIP_3) | instid1(SALU_CYCLE_1)
	s_cmp_lg_u32 s2, 0
	s_cselect_b32 s11, s18, s21
	s_cselect_b32 s10, s16, s20
	s_xor_b64 s[8:9], s[12:13], s[8:9]
	s_xor_b64 s[10:11], s[10:11], s[8:9]
	s_delay_alu instid0(SALU_CYCLE_1)
	s_sub_nc_u64 s[12:13], s[10:11], s[8:9]
	s_load_b32 s2, s[0:1], 0xc4
	s_and_not1_b32 vcc_lo, exec_lo, s3
	s_cbranch_vccnz .LBB15_3
.LBB15_2:
	v_cvt_f32_u32_e32 v1, s4
	s_sub_co_i32 s8, 0, s4
	s_mov_b32 s13, 0
	s_delay_alu instid0(VALU_DEP_1) | instskip(SKIP_1) | instid1(TRANS32_DEP_1)
	v_rcp_iflag_f32_e32 v1, v1
	v_nop
	v_mul_f32_e32 v1, 0x4f7ffffe, v1
	s_delay_alu instid0(VALU_DEP_1) | instskip(NEXT) | instid1(VALU_DEP_1)
	v_cvt_u32_f32_e32 v1, v1
	v_readfirstlane_b32 s3, v1
	s_mul_i32 s8, s8, s3
	s_delay_alu instid0(SALU_CYCLE_1) | instskip(NEXT) | instid1(SALU_CYCLE_1)
	s_mul_hi_u32 s8, s3, s8
	s_add_co_i32 s3, s3, s8
	s_delay_alu instid0(SALU_CYCLE_1) | instskip(NEXT) | instid1(SALU_CYCLE_1)
	s_mul_hi_u32 s3, s6, s3
	s_mul_i32 s8, s3, s4
	s_add_co_i32 s9, s3, 1
	s_sub_co_i32 s8, s6, s8
	s_delay_alu instid0(SALU_CYCLE_1)
	s_sub_co_i32 s10, s8, s4
	s_cmp_ge_u32 s8, s4
	s_cselect_b32 s3, s9, s3
	s_cselect_b32 s8, s10, s8
	s_add_co_i32 s9, s3, 1
	s_cmp_ge_u32 s8, s4
	s_cselect_b32 s12, s9, s3
.LBB15_3:
	s_bfe_u32 s8, ttmp6, 0x40010
	s_and_b32 s15, ttmp7, 0xffff
	s_add_co_i32 s8, s8, 1
	s_bfe_u32 s17, ttmp6, 0x40004
	s_mul_i32 s16, s15, s8
	s_bfe_u32 s8, ttmp6, 0x4000c
	s_and_b32 s18, ttmp6, 15
	s_add_co_i32 s8, s8, 1
	s_wait_kmcnt 0x0
	s_lshr_b32 s3, s2, 16
	s_mul_i32 s19, ttmp9, s8
	s_load_b128 s[8:11], s[0:1], 0x18
	v_and_b32_e32 v2, 0x3ff, v0
	v_mov_b32_e32 v3, 0
	s_and_b32 s2, s2, 0xffff
	s_add_co_i32 s17, s17, s16
	s_add_co_i32 s18, s18, s19
	v_bfe_u32 v4, v0, 10, 10
	s_cmp_eq_u32 s14, 0
	s_cselect_b32 s14, ttmp9, s18
	s_cselect_b32 s15, s15, s17
	v_mad_nc_u64_u32 v[0:1], s2, s14, v[2:3]
	v_mad_u32 v2, s15, s3, v4
	s_wait_kmcnt 0x0
	s_delay_alu instid0(VALU_DEP_2) | instskip(NEXT) | instid1(VALU_DEP_2)
	v_cmp_gt_i64_e64 s2, s[10:11], v[0:1]
	v_cmp_gt_i64_e32 vcc_lo, s[8:9], v[2:3]
	s_and_b32 s2, vcc_lo, s2
	s_delay_alu instid0(SALU_CYCLE_1)
	s_and_saveexec_b32 s3, s2
	s_cbranch_execz .LBB15_7
; %bb.4:
	s_clause 0x1
	s_load_b256 s[16:23], s[0:1], 0x70
	s_load_b64 s[2:3], s[0:1], 0x48
	s_mul_u64 s[4:5], s[12:13], s[4:5]
	s_delay_alu instid0(SALU_CYCLE_1)
	s_sub_nc_u64 s[14:15], s[6:7], s[4:5]
	s_wait_kmcnt 0x0
	v_mul_u64_e32 v[4:5], s[20:21], v[2:3]
	v_mul_u64_e32 v[6:7], s[22:23], v[0:1]
	s_mul_u64 s[4:5], s[16:17], s[12:13]
	s_mul_u64 s[6:7], s[18:19], s[14:15]
	s_lshl_b64 s[4:5], s[4:5], 3
	s_lshl_b64 s[6:7], s[6:7], 3
	s_add_nc_u64 s[2:3], s[2:3], s[4:5]
	s_delay_alu instid0(SALU_CYCLE_1) | instskip(SKIP_1) | instid1(VALU_DEP_2)
	s_add_nc_u64 s[2:3], s[2:3], s[6:7]
	s_load_b256 s[4:11], s[0:1], 0x90
	v_lshl_add_u64 v[4:5], v[4:5], 3, s[2:3]
	s_wait_kmcnt 0x0
	s_mul_u64 s[2:3], s[8:9], s[6:7]
	s_delay_alu instid0(SALU_CYCLE_1) | instskip(NEXT) | instid1(VALU_DEP_1)
	s_mul_u64 s[6:7], s[2:3], s[10:11]
	v_lshl_add_u64 v[4:5], v[6:7], 3, v[4:5]
	global_load_b64 v[4:5], v[4:5], off
	s_wait_loadcnt 0x0
	v_cmp_lt_i64_e32 vcc_lo, -1, v[4:5]
	v_cmp_gt_i64_e64 s2, s[6:7], v[4:5]
	s_and_b32 s2, vcc_lo, s2
	s_delay_alu instid0(SALU_CYCLE_1) | instskip(NEXT) | instid1(SALU_CYCLE_1)
	s_and_saveexec_b32 s3, s2
	s_xor_b32 s2, exec_lo, s3
	s_cbranch_execz .LBB15_6
; %bb.5:
	s_load_b256 s[16:23], s[0:1], 0x28
	s_wait_kmcnt 0x0
	v_mul_u64_e32 v[2:3], s[20:21], v[2:3]
	v_mul_u64_e32 v[0:1], s[22:23], v[0:1]
	s_load_b64 s[0:1], s[0:1], 0x0
	s_mul_u64 s[8:9], s[16:17], s[12:13]
	s_mul_u64 s[10:11], s[18:19], s[14:15]
	s_lshl_b64 s[8:9], s[8:9], 2
	s_wait_kmcnt 0x0
	s_add_nc_u64 s[0:1], s[0:1], s[8:9]
	s_lshl_b64 s[8:9], s[10:11], 2
	s_delay_alu instid0(SALU_CYCLE_1)
	s_add_nc_u64 s[0:1], s[0:1], s[8:9]
	s_delay_alu instid0(VALU_DEP_2) | instid1(SALU_CYCLE_1)
	v_lshl_add_u64 v[2:3], v[2:3], 2, s[0:1]
	s_mul_u64 s[0:1], s[6:7], s[12:13]
	s_delay_alu instid0(SALU_CYCLE_1) | instskip(NEXT) | instid1(SALU_CYCLE_1)
	s_lshl_b64 s[0:1], s[0:1], 2
	s_add_nc_u64 s[0:1], s[4:5], s[0:1]
	s_delay_alu instid0(VALU_DEP_1)
	v_lshl_add_u64 v[0:1], v[0:1], 2, v[2:3]
	global_load_b32 v2, v[0:1], off
	s_wait_xcnt 0x0
	v_lshl_add_u64 v[0:1], v[4:5], 2, s[0:1]
	s_wait_loadcnt 0x0
	global_store_b32 v[0:1], v2, off
.LBB15_6:
	s_wait_xcnt 0x0
	s_and_not1_saveexec_b32 s0, s2
	s_cbranch_execnz .LBB15_9
.LBB15_7:
	s_endpgm
.LBB15_8:
                                        ; implicit-def: $sgpr12_sgpr13
	s_load_b32 s2, s[0:1], 0xc4
	s_branch .LBB15_2
.LBB15_9:
	s_trap 2
	; divergent unreachable
	s_endpgm
	.section	.rodata,"a",@progbits
	.p2align	6, 0x0
	.amdhsa_kernel _ZN2at6native30max_unpooling3d_forward_kernelIfEEvN5torch10headeronly6detail27GenericPackedTensorAccessorINS4_14TensorAccessorIN3c108ArrayRefIlEEKT_Lm3ENS3_16DefaultPtrTraitsElEENS_6detail16IndexBoundsCheckILm4ElEESB_Lm4ESC_lEENS5_INS6_IS9_KlLm3ESC_lEESG_SI_Lm4ESC_lEEPSA_llll
		.amdhsa_group_segment_fixed_size 0
		.amdhsa_private_segment_fixed_size 0
		.amdhsa_kernarg_size 440
		.amdhsa_user_sgpr_count 2
		.amdhsa_user_sgpr_dispatch_ptr 0
		.amdhsa_user_sgpr_queue_ptr 0
		.amdhsa_user_sgpr_kernarg_segment_ptr 1
		.amdhsa_user_sgpr_dispatch_id 0
		.amdhsa_user_sgpr_kernarg_preload_length 0
		.amdhsa_user_sgpr_kernarg_preload_offset 0
		.amdhsa_user_sgpr_private_segment_size 0
		.amdhsa_wavefront_size32 1
		.amdhsa_uses_dynamic_stack 0
		.amdhsa_enable_private_segment 0
		.amdhsa_system_sgpr_workgroup_id_x 1
		.amdhsa_system_sgpr_workgroup_id_y 1
		.amdhsa_system_sgpr_workgroup_id_z 1
		.amdhsa_system_sgpr_workgroup_info 0
		.amdhsa_system_vgpr_workitem_id 1
		.amdhsa_next_free_vgpr 8
		.amdhsa_next_free_sgpr 26
		.amdhsa_named_barrier_count 0
		.amdhsa_reserve_vcc 1
		.amdhsa_float_round_mode_32 0
		.amdhsa_float_round_mode_16_64 0
		.amdhsa_float_denorm_mode_32 3
		.amdhsa_float_denorm_mode_16_64 3
		.amdhsa_fp16_overflow 0
		.amdhsa_memory_ordered 1
		.amdhsa_forward_progress 1
		.amdhsa_inst_pref_size 10
		.amdhsa_round_robin_scheduling 0
		.amdhsa_exception_fp_ieee_invalid_op 0
		.amdhsa_exception_fp_denorm_src 0
		.amdhsa_exception_fp_ieee_div_zero 0
		.amdhsa_exception_fp_ieee_overflow 0
		.amdhsa_exception_fp_ieee_underflow 0
		.amdhsa_exception_fp_ieee_inexact 0
		.amdhsa_exception_int_div_zero 0
	.end_amdhsa_kernel
	.section	.text._ZN2at6native30max_unpooling3d_forward_kernelIfEEvN5torch10headeronly6detail27GenericPackedTensorAccessorINS4_14TensorAccessorIN3c108ArrayRefIlEEKT_Lm3ENS3_16DefaultPtrTraitsElEENS_6detail16IndexBoundsCheckILm4ElEESB_Lm4ESC_lEENS5_INS6_IS9_KlLm3ESC_lEESG_SI_Lm4ESC_lEEPSA_llll,"axG",@progbits,_ZN2at6native30max_unpooling3d_forward_kernelIfEEvN5torch10headeronly6detail27GenericPackedTensorAccessorINS4_14TensorAccessorIN3c108ArrayRefIlEEKT_Lm3ENS3_16DefaultPtrTraitsElEENS_6detail16IndexBoundsCheckILm4ElEESB_Lm4ESC_lEENS5_INS6_IS9_KlLm3ESC_lEESG_SI_Lm4ESC_lEEPSA_llll,comdat
.Lfunc_end15:
	.size	_ZN2at6native30max_unpooling3d_forward_kernelIfEEvN5torch10headeronly6detail27GenericPackedTensorAccessorINS4_14TensorAccessorIN3c108ArrayRefIlEEKT_Lm3ENS3_16DefaultPtrTraitsElEENS_6detail16IndexBoundsCheckILm4ElEESB_Lm4ESC_lEENS5_INS6_IS9_KlLm3ESC_lEESG_SI_Lm4ESC_lEEPSA_llll, .Lfunc_end15-_ZN2at6native30max_unpooling3d_forward_kernelIfEEvN5torch10headeronly6detail27GenericPackedTensorAccessorINS4_14TensorAccessorIN3c108ArrayRefIlEEKT_Lm3ENS3_16DefaultPtrTraitsElEENS_6detail16IndexBoundsCheckILm4ElEESB_Lm4ESC_lEENS5_INS6_IS9_KlLm3ESC_lEESG_SI_Lm4ESC_lEEPSA_llll
                                        ; -- End function
	.set _ZN2at6native30max_unpooling3d_forward_kernelIfEEvN5torch10headeronly6detail27GenericPackedTensorAccessorINS4_14TensorAccessorIN3c108ArrayRefIlEEKT_Lm3ENS3_16DefaultPtrTraitsElEENS_6detail16IndexBoundsCheckILm4ElEESB_Lm4ESC_lEENS5_INS6_IS9_KlLm3ESC_lEESG_SI_Lm4ESC_lEEPSA_llll.num_vgpr, 8
	.set _ZN2at6native30max_unpooling3d_forward_kernelIfEEvN5torch10headeronly6detail27GenericPackedTensorAccessorINS4_14TensorAccessorIN3c108ArrayRefIlEEKT_Lm3ENS3_16DefaultPtrTraitsElEENS_6detail16IndexBoundsCheckILm4ElEESB_Lm4ESC_lEENS5_INS6_IS9_KlLm3ESC_lEESG_SI_Lm4ESC_lEEPSA_llll.num_agpr, 0
	.set _ZN2at6native30max_unpooling3d_forward_kernelIfEEvN5torch10headeronly6detail27GenericPackedTensorAccessorINS4_14TensorAccessorIN3c108ArrayRefIlEEKT_Lm3ENS3_16DefaultPtrTraitsElEENS_6detail16IndexBoundsCheckILm4ElEESB_Lm4ESC_lEENS5_INS6_IS9_KlLm3ESC_lEESG_SI_Lm4ESC_lEEPSA_llll.numbered_sgpr, 26
	.set _ZN2at6native30max_unpooling3d_forward_kernelIfEEvN5torch10headeronly6detail27GenericPackedTensorAccessorINS4_14TensorAccessorIN3c108ArrayRefIlEEKT_Lm3ENS3_16DefaultPtrTraitsElEENS_6detail16IndexBoundsCheckILm4ElEESB_Lm4ESC_lEENS5_INS6_IS9_KlLm3ESC_lEESG_SI_Lm4ESC_lEEPSA_llll.num_named_barrier, 0
	.set _ZN2at6native30max_unpooling3d_forward_kernelIfEEvN5torch10headeronly6detail27GenericPackedTensorAccessorINS4_14TensorAccessorIN3c108ArrayRefIlEEKT_Lm3ENS3_16DefaultPtrTraitsElEENS_6detail16IndexBoundsCheckILm4ElEESB_Lm4ESC_lEENS5_INS6_IS9_KlLm3ESC_lEESG_SI_Lm4ESC_lEEPSA_llll.private_seg_size, 0
	.set _ZN2at6native30max_unpooling3d_forward_kernelIfEEvN5torch10headeronly6detail27GenericPackedTensorAccessorINS4_14TensorAccessorIN3c108ArrayRefIlEEKT_Lm3ENS3_16DefaultPtrTraitsElEENS_6detail16IndexBoundsCheckILm4ElEESB_Lm4ESC_lEENS5_INS6_IS9_KlLm3ESC_lEESG_SI_Lm4ESC_lEEPSA_llll.uses_vcc, 1
	.set _ZN2at6native30max_unpooling3d_forward_kernelIfEEvN5torch10headeronly6detail27GenericPackedTensorAccessorINS4_14TensorAccessorIN3c108ArrayRefIlEEKT_Lm3ENS3_16DefaultPtrTraitsElEENS_6detail16IndexBoundsCheckILm4ElEESB_Lm4ESC_lEENS5_INS6_IS9_KlLm3ESC_lEESG_SI_Lm4ESC_lEEPSA_llll.uses_flat_scratch, 0
	.set _ZN2at6native30max_unpooling3d_forward_kernelIfEEvN5torch10headeronly6detail27GenericPackedTensorAccessorINS4_14TensorAccessorIN3c108ArrayRefIlEEKT_Lm3ENS3_16DefaultPtrTraitsElEENS_6detail16IndexBoundsCheckILm4ElEESB_Lm4ESC_lEENS5_INS6_IS9_KlLm3ESC_lEESG_SI_Lm4ESC_lEEPSA_llll.has_dyn_sized_stack, 0
	.set _ZN2at6native30max_unpooling3d_forward_kernelIfEEvN5torch10headeronly6detail27GenericPackedTensorAccessorINS4_14TensorAccessorIN3c108ArrayRefIlEEKT_Lm3ENS3_16DefaultPtrTraitsElEENS_6detail16IndexBoundsCheckILm4ElEESB_Lm4ESC_lEENS5_INS6_IS9_KlLm3ESC_lEESG_SI_Lm4ESC_lEEPSA_llll.has_recursion, 0
	.set _ZN2at6native30max_unpooling3d_forward_kernelIfEEvN5torch10headeronly6detail27GenericPackedTensorAccessorINS4_14TensorAccessorIN3c108ArrayRefIlEEKT_Lm3ENS3_16DefaultPtrTraitsElEENS_6detail16IndexBoundsCheckILm4ElEESB_Lm4ESC_lEENS5_INS6_IS9_KlLm3ESC_lEESG_SI_Lm4ESC_lEEPSA_llll.has_indirect_call, 0
	.section	.AMDGPU.csdata,"",@progbits
; Kernel info:
; codeLenInByte = 1260
; TotalNumSgprs: 28
; NumVgprs: 8
; ScratchSize: 0
; MemoryBound: 0
; FloatMode: 240
; IeeeMode: 1
; LDSByteSize: 0 bytes/workgroup (compile time only)
; SGPRBlocks: 0
; VGPRBlocks: 0
; NumSGPRsForWavesPerEU: 28
; NumVGPRsForWavesPerEU: 8
; NamedBarCnt: 0
; Occupancy: 16
; WaveLimiterHint : 1
; COMPUTE_PGM_RSRC2:SCRATCH_EN: 0
; COMPUTE_PGM_RSRC2:USER_SGPR: 2
; COMPUTE_PGM_RSRC2:TRAP_HANDLER: 0
; COMPUTE_PGM_RSRC2:TGID_X_EN: 1
; COMPUTE_PGM_RSRC2:TGID_Y_EN: 1
; COMPUTE_PGM_RSRC2:TGID_Z_EN: 1
; COMPUTE_PGM_RSRC2:TIDIG_COMP_CNT: 1
	.section	.text._ZN2at6native30max_unpooling3d_forward_kernelIN3c104HalfEEEvN5torch10headeronly6detail27GenericPackedTensorAccessorINS6_14TensorAccessorINS2_8ArrayRefIlEEKT_Lm3ENS5_16DefaultPtrTraitsElEENS_6detail16IndexBoundsCheckILm4ElEESC_Lm4ESD_lEENS7_INS8_ISA_KlLm3ESD_lEESH_SJ_Lm4ESD_lEEPSB_llll,"axG",@progbits,_ZN2at6native30max_unpooling3d_forward_kernelIN3c104HalfEEEvN5torch10headeronly6detail27GenericPackedTensorAccessorINS6_14TensorAccessorINS2_8ArrayRefIlEEKT_Lm3ENS5_16DefaultPtrTraitsElEENS_6detail16IndexBoundsCheckILm4ElEESC_Lm4ESD_lEENS7_INS8_ISA_KlLm3ESD_lEESH_SJ_Lm4ESD_lEEPSB_llll,comdat
	.protected	_ZN2at6native30max_unpooling3d_forward_kernelIN3c104HalfEEEvN5torch10headeronly6detail27GenericPackedTensorAccessorINS6_14TensorAccessorINS2_8ArrayRefIlEEKT_Lm3ENS5_16DefaultPtrTraitsElEENS_6detail16IndexBoundsCheckILm4ElEESC_Lm4ESD_lEENS7_INS8_ISA_KlLm3ESD_lEESH_SJ_Lm4ESD_lEEPSB_llll ; -- Begin function _ZN2at6native30max_unpooling3d_forward_kernelIN3c104HalfEEEvN5torch10headeronly6detail27GenericPackedTensorAccessorINS6_14TensorAccessorINS2_8ArrayRefIlEEKT_Lm3ENS5_16DefaultPtrTraitsElEENS_6detail16IndexBoundsCheckILm4ElEESC_Lm4ESD_lEENS7_INS8_ISA_KlLm3ESD_lEESH_SJ_Lm4ESD_lEEPSB_llll
	.globl	_ZN2at6native30max_unpooling3d_forward_kernelIN3c104HalfEEEvN5torch10headeronly6detail27GenericPackedTensorAccessorINS6_14TensorAccessorINS2_8ArrayRefIlEEKT_Lm3ENS5_16DefaultPtrTraitsElEENS_6detail16IndexBoundsCheckILm4ElEESC_Lm4ESD_lEENS7_INS8_ISA_KlLm3ESD_lEESH_SJ_Lm4ESD_lEEPSB_llll
	.p2align	8
	.type	_ZN2at6native30max_unpooling3d_forward_kernelIN3c104HalfEEEvN5torch10headeronly6detail27GenericPackedTensorAccessorINS6_14TensorAccessorINS2_8ArrayRefIlEEKT_Lm3ENS5_16DefaultPtrTraitsElEENS_6detail16IndexBoundsCheckILm4ElEESC_Lm4ESD_lEENS7_INS8_ISA_KlLm3ESD_lEESH_SJ_Lm4ESD_lEEPSB_llll,@function
_ZN2at6native30max_unpooling3d_forward_kernelIN3c104HalfEEEvN5torch10headeronly6detail27GenericPackedTensorAccessorINS6_14TensorAccessorINS2_8ArrayRefIlEEKT_Lm3ENS5_16DefaultPtrTraitsElEENS_6detail16IndexBoundsCheckILm4ElEESC_Lm4ESD_lEENS7_INS8_ISA_KlLm3ESD_lEESH_SJ_Lm4ESD_lEEPSB_llll: ; @_ZN2at6native30max_unpooling3d_forward_kernelIN3c104HalfEEEvN5torch10headeronly6detail27GenericPackedTensorAccessorINS6_14TensorAccessorINS2_8ArrayRefIlEEKT_Lm3ENS5_16DefaultPtrTraitsElEENS_6detail16IndexBoundsCheckILm4ElEESC_Lm4ESD_lEENS7_INS8_ISA_KlLm3ESD_lEESH_SJ_Lm4ESD_lEEPSB_llll
; %bb.0:
	s_clause 0x1
	s_load_b64 s[6:7], s[0:1], 0xb0
	s_load_b64 s[4:5], s[0:1], 0x10
	s_bfe_u32 s2, ttmp6, 0x40014
	s_lshr_b32 s8, ttmp7, 16
	s_add_co_i32 s2, s2, 1
	s_bfe_u32 s3, ttmp6, 0x40008
	s_mul_i32 s2, s8, s2
	s_getreg_b32 s14, hwreg(HW_REG_IB_STS2, 6, 4)
	s_add_co_i32 s2, s3, s2
	s_cmp_eq_u32 s14, 0
	s_mov_b32 s3, 0
	s_cselect_b32 s2, s8, s2
	s_wait_kmcnt 0x0
	s_add_nc_u64 s[6:7], s[6:7], s[2:3]
	s_delay_alu instid0(SALU_CYCLE_1) | instskip(NEXT) | instid1(SALU_CYCLE_1)
	s_or_b64 s[8:9], s[6:7], s[4:5]
	s_and_b64 s[8:9], s[8:9], 0xffffffff00000000
	s_delay_alu instid0(SALU_CYCLE_1)
	s_cmp_lg_u64 s[8:9], 0
	s_cbranch_scc0 .LBB16_8
; %bb.1:
	s_ashr_i32 s8, s5, 31
	s_delay_alu instid0(SALU_CYCLE_1) | instskip(NEXT) | instid1(SALU_CYCLE_1)
	s_mov_b32 s9, s8
	s_add_nc_u64 s[10:11], s[4:5], s[8:9]
	s_delay_alu instid0(SALU_CYCLE_1) | instskip(NEXT) | instid1(SALU_CYCLE_1)
	s_xor_b64 s[10:11], s[10:11], s[8:9]
	s_cvt_f32_u32 s2, s10
	s_cvt_f32_u32 s12, s11
	s_sub_nc_u64 s[16:17], 0, s[10:11]
	s_delay_alu instid0(SALU_CYCLE_2) | instskip(NEXT) | instid1(SALU_CYCLE_3)
	s_fmamk_f32 s2, s12, 0x4f800000, s2
	v_s_rcp_f32 s2, s2
	s_delay_alu instid0(TRANS32_DEP_1) | instskip(NEXT) | instid1(SALU_CYCLE_3)
	s_mul_f32 s2, s2, 0x5f7ffffc
	s_mul_f32 s12, s2, 0x2f800000
	s_delay_alu instid0(SALU_CYCLE_3) | instskip(NEXT) | instid1(SALU_CYCLE_3)
	s_trunc_f32 s12, s12
	s_fmamk_f32 s2, s12, 0xcf800000, s2
	s_cvt_u32_f32 s13, s12
	s_delay_alu instid0(SALU_CYCLE_2) | instskip(NEXT) | instid1(SALU_CYCLE_3)
	s_cvt_u32_f32 s12, s2
	s_mul_u64 s[18:19], s[16:17], s[12:13]
	s_delay_alu instid0(SALU_CYCLE_1)
	s_mul_hi_u32 s21, s12, s19
	s_mul_i32 s20, s12, s19
	s_mul_hi_u32 s2, s12, s18
	s_mul_i32 s22, s13, s18
	s_add_nc_u64 s[20:21], s[2:3], s[20:21]
	s_mul_hi_u32 s15, s13, s18
	s_mul_hi_u32 s23, s13, s19
	s_add_co_u32 s2, s20, s22
	s_add_co_ci_u32 s2, s21, s15
	s_mul_i32 s18, s13, s19
	s_add_co_ci_u32 s19, s23, 0
	s_delay_alu instid0(SALU_CYCLE_1) | instskip(NEXT) | instid1(SALU_CYCLE_1)
	s_add_nc_u64 s[18:19], s[2:3], s[18:19]
	s_add_co_u32 s12, s12, s18
	s_cselect_b32 s2, -1, 0
	s_delay_alu instid0(SALU_CYCLE_1) | instskip(SKIP_1) | instid1(SALU_CYCLE_1)
	s_cmp_lg_u32 s2, 0
	s_add_co_ci_u32 s13, s13, s19
	s_mul_u64 s[16:17], s[16:17], s[12:13]
	s_delay_alu instid0(SALU_CYCLE_1)
	s_mul_hi_u32 s19, s12, s17
	s_mul_i32 s18, s12, s17
	s_mul_hi_u32 s2, s12, s16
	s_mul_i32 s20, s13, s16
	s_add_nc_u64 s[18:19], s[2:3], s[18:19]
	s_mul_hi_u32 s15, s13, s16
	s_mul_hi_u32 s21, s13, s17
	s_add_co_u32 s2, s18, s20
	s_add_co_ci_u32 s2, s19, s15
	s_mul_i32 s16, s13, s17
	s_add_co_ci_u32 s17, s21, 0
	s_delay_alu instid0(SALU_CYCLE_1) | instskip(NEXT) | instid1(SALU_CYCLE_1)
	s_add_nc_u64 s[16:17], s[2:3], s[16:17]
	s_add_co_u32 s15, s12, s16
	s_cselect_b32 s2, -1, 0
	s_delay_alu instid0(SALU_CYCLE_1) | instskip(SKIP_2) | instid1(SALU_CYCLE_1)
	s_cmp_lg_u32 s2, 0
	s_add_co_ci_u32 s20, s13, s17
	s_ashr_i32 s12, s7, 31
	s_mov_b32 s13, s12
	s_delay_alu instid0(SALU_CYCLE_1) | instskip(NEXT) | instid1(SALU_CYCLE_1)
	s_add_nc_u64 s[16:17], s[6:7], s[12:13]
	s_xor_b64 s[16:17], s[16:17], s[12:13]
	s_delay_alu instid0(SALU_CYCLE_1)
	s_mul_hi_u32 s19, s16, s20
	s_mul_i32 s18, s16, s20
	s_mul_hi_u32 s2, s16, s15
	s_mul_hi_u32 s22, s17, s15
	s_mul_i32 s15, s17, s15
	s_add_nc_u64 s[18:19], s[2:3], s[18:19]
	s_mul_hi_u32 s21, s17, s20
	s_add_co_u32 s2, s18, s15
	s_add_co_ci_u32 s2, s19, s22
	s_mul_i32 s20, s17, s20
	s_add_co_ci_u32 s21, s21, 0
	s_delay_alu instid0(SALU_CYCLE_1) | instskip(NEXT) | instid1(SALU_CYCLE_1)
	s_add_nc_u64 s[18:19], s[2:3], s[20:21]
	s_and_b64 s[20:21], s[18:19], 0xffffffff00000000
	s_delay_alu instid0(SALU_CYCLE_1) | instskip(NEXT) | instid1(SALU_CYCLE_1)
	s_or_b32 s20, s20, s18
	s_mul_u64 s[18:19], s[10:11], s[20:21]
	s_delay_alu instid0(SALU_CYCLE_1)
	s_sub_co_u32 s2, s16, s18
	s_cselect_b32 s15, -1, 0
	s_sub_co_i32 s16, s17, s19
	s_cmp_lg_u32 s15, 0
	s_sub_co_ci_u32 s16, s16, s11
	s_sub_co_u32 s18, s2, s10
	s_cselect_b32 s22, -1, 0
	s_delay_alu instid0(SALU_CYCLE_1) | instskip(SKIP_2) | instid1(SALU_CYCLE_1)
	s_cmp_lg_u32 s22, 0
	s_add_nc_u64 s[22:23], s[20:21], 1
	s_sub_co_ci_u32 s16, s16, 0
	s_cmp_ge_u32 s16, s11
	s_cselect_b32 s24, -1, 0
	s_cmp_ge_u32 s18, s10
	s_cselect_b32 s18, -1, 0
	s_cmp_eq_u32 s16, s11
	s_cselect_b32 s16, s18, s24
	s_add_nc_u64 s[24:25], s[20:21], 2
	s_cmp_lg_u32 s16, 0
	s_cselect_b32 s16, s24, s22
	s_cselect_b32 s18, s25, s23
	s_cmp_lg_u32 s15, 0
	s_sub_co_ci_u32 s15, s17, s19
	s_delay_alu instid0(SALU_CYCLE_1)
	s_cmp_ge_u32 s15, s11
	s_cselect_b32 s17, -1, 0
	s_cmp_ge_u32 s2, s10
	s_cselect_b32 s2, -1, 0
	s_cmp_eq_u32 s15, s11
	s_cselect_b32 s2, s2, s17
	s_delay_alu instid0(SALU_CYCLE_1) | instskip(SKIP_3) | instid1(SALU_CYCLE_1)
	s_cmp_lg_u32 s2, 0
	s_cselect_b32 s11, s18, s21
	s_cselect_b32 s10, s16, s20
	s_xor_b64 s[8:9], s[12:13], s[8:9]
	s_xor_b64 s[10:11], s[10:11], s[8:9]
	s_delay_alu instid0(SALU_CYCLE_1)
	s_sub_nc_u64 s[12:13], s[10:11], s[8:9]
	s_load_b32 s2, s[0:1], 0xc4
	s_and_not1_b32 vcc_lo, exec_lo, s3
	s_cbranch_vccnz .LBB16_3
.LBB16_2:
	v_cvt_f32_u32_e32 v1, s4
	s_sub_co_i32 s8, 0, s4
	s_mov_b32 s13, 0
	s_delay_alu instid0(VALU_DEP_1) | instskip(SKIP_1) | instid1(TRANS32_DEP_1)
	v_rcp_iflag_f32_e32 v1, v1
	v_nop
	v_mul_f32_e32 v1, 0x4f7ffffe, v1
	s_delay_alu instid0(VALU_DEP_1) | instskip(NEXT) | instid1(VALU_DEP_1)
	v_cvt_u32_f32_e32 v1, v1
	v_readfirstlane_b32 s3, v1
	s_mul_i32 s8, s8, s3
	s_delay_alu instid0(SALU_CYCLE_1) | instskip(NEXT) | instid1(SALU_CYCLE_1)
	s_mul_hi_u32 s8, s3, s8
	s_add_co_i32 s3, s3, s8
	s_delay_alu instid0(SALU_CYCLE_1) | instskip(NEXT) | instid1(SALU_CYCLE_1)
	s_mul_hi_u32 s3, s6, s3
	s_mul_i32 s8, s3, s4
	s_add_co_i32 s9, s3, 1
	s_sub_co_i32 s8, s6, s8
	s_delay_alu instid0(SALU_CYCLE_1)
	s_sub_co_i32 s10, s8, s4
	s_cmp_ge_u32 s8, s4
	s_cselect_b32 s3, s9, s3
	s_cselect_b32 s8, s10, s8
	s_add_co_i32 s9, s3, 1
	s_cmp_ge_u32 s8, s4
	s_cselect_b32 s12, s9, s3
.LBB16_3:
	s_bfe_u32 s8, ttmp6, 0x40010
	s_and_b32 s15, ttmp7, 0xffff
	s_add_co_i32 s8, s8, 1
	s_bfe_u32 s17, ttmp6, 0x40004
	s_mul_i32 s16, s15, s8
	s_bfe_u32 s8, ttmp6, 0x4000c
	s_and_b32 s18, ttmp6, 15
	s_add_co_i32 s8, s8, 1
	s_wait_kmcnt 0x0
	s_lshr_b32 s3, s2, 16
	s_mul_i32 s19, ttmp9, s8
	s_load_b128 s[8:11], s[0:1], 0x18
	v_and_b32_e32 v2, 0x3ff, v0
	v_mov_b32_e32 v3, 0
	s_and_b32 s2, s2, 0xffff
	s_add_co_i32 s17, s17, s16
	s_add_co_i32 s18, s18, s19
	v_bfe_u32 v4, v0, 10, 10
	s_cmp_eq_u32 s14, 0
	s_cselect_b32 s14, ttmp9, s18
	s_cselect_b32 s15, s15, s17
	v_mad_nc_u64_u32 v[0:1], s2, s14, v[2:3]
	v_mad_u32 v2, s15, s3, v4
	s_wait_kmcnt 0x0
	s_delay_alu instid0(VALU_DEP_2) | instskip(NEXT) | instid1(VALU_DEP_2)
	v_cmp_gt_i64_e64 s2, s[10:11], v[0:1]
	v_cmp_gt_i64_e32 vcc_lo, s[8:9], v[2:3]
	s_and_b32 s2, vcc_lo, s2
	s_delay_alu instid0(SALU_CYCLE_1)
	s_and_saveexec_b32 s3, s2
	s_cbranch_execz .LBB16_7
; %bb.4:
	s_clause 0x1
	s_load_b256 s[16:23], s[0:1], 0x70
	s_load_b64 s[2:3], s[0:1], 0x48
	s_mul_u64 s[4:5], s[12:13], s[4:5]
	s_delay_alu instid0(SALU_CYCLE_1)
	s_sub_nc_u64 s[14:15], s[6:7], s[4:5]
	s_wait_kmcnt 0x0
	v_mul_u64_e32 v[4:5], s[20:21], v[2:3]
	v_mul_u64_e32 v[6:7], s[22:23], v[0:1]
	s_mul_u64 s[4:5], s[16:17], s[12:13]
	s_mul_u64 s[6:7], s[18:19], s[14:15]
	s_lshl_b64 s[4:5], s[4:5], 3
	s_lshl_b64 s[6:7], s[6:7], 3
	s_add_nc_u64 s[2:3], s[2:3], s[4:5]
	s_delay_alu instid0(SALU_CYCLE_1) | instskip(SKIP_1) | instid1(VALU_DEP_2)
	s_add_nc_u64 s[2:3], s[2:3], s[6:7]
	s_load_b256 s[4:11], s[0:1], 0x90
	v_lshl_add_u64 v[4:5], v[4:5], 3, s[2:3]
	s_wait_kmcnt 0x0
	s_mul_u64 s[2:3], s[8:9], s[6:7]
	s_delay_alu instid0(SALU_CYCLE_1) | instskip(NEXT) | instid1(VALU_DEP_1)
	s_mul_u64 s[6:7], s[2:3], s[10:11]
	v_lshl_add_u64 v[4:5], v[6:7], 3, v[4:5]
	global_load_b64 v[4:5], v[4:5], off
	s_wait_loadcnt 0x0
	v_cmp_lt_i64_e32 vcc_lo, -1, v[4:5]
	v_cmp_gt_i64_e64 s2, s[6:7], v[4:5]
	s_and_b32 s2, vcc_lo, s2
	s_delay_alu instid0(SALU_CYCLE_1) | instskip(NEXT) | instid1(SALU_CYCLE_1)
	s_and_saveexec_b32 s3, s2
	s_xor_b32 s2, exec_lo, s3
	s_cbranch_execz .LBB16_6
; %bb.5:
	s_load_b256 s[16:23], s[0:1], 0x28
	s_wait_kmcnt 0x0
	v_mul_u64_e32 v[2:3], s[20:21], v[2:3]
	v_mul_u64_e32 v[0:1], s[22:23], v[0:1]
	s_load_b64 s[0:1], s[0:1], 0x0
	s_mul_u64 s[8:9], s[16:17], s[12:13]
	s_mul_u64 s[10:11], s[18:19], s[14:15]
	s_lshl_b64 s[8:9], s[8:9], 1
	s_wait_kmcnt 0x0
	s_add_nc_u64 s[0:1], s[0:1], s[8:9]
	s_lshl_b64 s[8:9], s[10:11], 1
	s_delay_alu instid0(SALU_CYCLE_1)
	s_add_nc_u64 s[0:1], s[0:1], s[8:9]
	s_delay_alu instid0(VALU_DEP_2) | instid1(SALU_CYCLE_1)
	v_lshl_add_u64 v[2:3], v[2:3], 1, s[0:1]
	s_mul_u64 s[0:1], s[6:7], s[12:13]
	s_delay_alu instid0(SALU_CYCLE_1) | instskip(NEXT) | instid1(SALU_CYCLE_1)
	s_lshl_b64 s[0:1], s[0:1], 1
	s_add_nc_u64 s[0:1], s[4:5], s[0:1]
	s_delay_alu instid0(VALU_DEP_1)
	v_lshl_add_u64 v[0:1], v[0:1], 1, v[2:3]
	global_load_u16 v2, v[0:1], off
	s_wait_xcnt 0x0
	v_lshl_add_u64 v[0:1], v[4:5], 1, s[0:1]
	s_wait_loadcnt 0x0
	global_store_b16 v[0:1], v2, off
.LBB16_6:
	s_wait_xcnt 0x0
	s_and_not1_saveexec_b32 s0, s2
	s_cbranch_execnz .LBB16_9
.LBB16_7:
	s_endpgm
.LBB16_8:
                                        ; implicit-def: $sgpr12_sgpr13
	s_load_b32 s2, s[0:1], 0xc4
	s_branch .LBB16_2
.LBB16_9:
	s_trap 2
	; divergent unreachable
	s_endpgm
	.section	.rodata,"a",@progbits
	.p2align	6, 0x0
	.amdhsa_kernel _ZN2at6native30max_unpooling3d_forward_kernelIN3c104HalfEEEvN5torch10headeronly6detail27GenericPackedTensorAccessorINS6_14TensorAccessorINS2_8ArrayRefIlEEKT_Lm3ENS5_16DefaultPtrTraitsElEENS_6detail16IndexBoundsCheckILm4ElEESC_Lm4ESD_lEENS7_INS8_ISA_KlLm3ESD_lEESH_SJ_Lm4ESD_lEEPSB_llll
		.amdhsa_group_segment_fixed_size 0
		.amdhsa_private_segment_fixed_size 0
		.amdhsa_kernarg_size 440
		.amdhsa_user_sgpr_count 2
		.amdhsa_user_sgpr_dispatch_ptr 0
		.amdhsa_user_sgpr_queue_ptr 0
		.amdhsa_user_sgpr_kernarg_segment_ptr 1
		.amdhsa_user_sgpr_dispatch_id 0
		.amdhsa_user_sgpr_kernarg_preload_length 0
		.amdhsa_user_sgpr_kernarg_preload_offset 0
		.amdhsa_user_sgpr_private_segment_size 0
		.amdhsa_wavefront_size32 1
		.amdhsa_uses_dynamic_stack 0
		.amdhsa_enable_private_segment 0
		.amdhsa_system_sgpr_workgroup_id_x 1
		.amdhsa_system_sgpr_workgroup_id_y 1
		.amdhsa_system_sgpr_workgroup_id_z 1
		.amdhsa_system_sgpr_workgroup_info 0
		.amdhsa_system_vgpr_workitem_id 1
		.amdhsa_next_free_vgpr 8
		.amdhsa_next_free_sgpr 26
		.amdhsa_named_barrier_count 0
		.amdhsa_reserve_vcc 1
		.amdhsa_float_round_mode_32 0
		.amdhsa_float_round_mode_16_64 0
		.amdhsa_float_denorm_mode_32 3
		.amdhsa_float_denorm_mode_16_64 3
		.amdhsa_fp16_overflow 0
		.amdhsa_memory_ordered 1
		.amdhsa_forward_progress 1
		.amdhsa_inst_pref_size 10
		.amdhsa_round_robin_scheduling 0
		.amdhsa_exception_fp_ieee_invalid_op 0
		.amdhsa_exception_fp_denorm_src 0
		.amdhsa_exception_fp_ieee_div_zero 0
		.amdhsa_exception_fp_ieee_overflow 0
		.amdhsa_exception_fp_ieee_underflow 0
		.amdhsa_exception_fp_ieee_inexact 0
		.amdhsa_exception_int_div_zero 0
	.end_amdhsa_kernel
	.section	.text._ZN2at6native30max_unpooling3d_forward_kernelIN3c104HalfEEEvN5torch10headeronly6detail27GenericPackedTensorAccessorINS6_14TensorAccessorINS2_8ArrayRefIlEEKT_Lm3ENS5_16DefaultPtrTraitsElEENS_6detail16IndexBoundsCheckILm4ElEESC_Lm4ESD_lEENS7_INS8_ISA_KlLm3ESD_lEESH_SJ_Lm4ESD_lEEPSB_llll,"axG",@progbits,_ZN2at6native30max_unpooling3d_forward_kernelIN3c104HalfEEEvN5torch10headeronly6detail27GenericPackedTensorAccessorINS6_14TensorAccessorINS2_8ArrayRefIlEEKT_Lm3ENS5_16DefaultPtrTraitsElEENS_6detail16IndexBoundsCheckILm4ElEESC_Lm4ESD_lEENS7_INS8_ISA_KlLm3ESD_lEESH_SJ_Lm4ESD_lEEPSB_llll,comdat
.Lfunc_end16:
	.size	_ZN2at6native30max_unpooling3d_forward_kernelIN3c104HalfEEEvN5torch10headeronly6detail27GenericPackedTensorAccessorINS6_14TensorAccessorINS2_8ArrayRefIlEEKT_Lm3ENS5_16DefaultPtrTraitsElEENS_6detail16IndexBoundsCheckILm4ElEESC_Lm4ESD_lEENS7_INS8_ISA_KlLm3ESD_lEESH_SJ_Lm4ESD_lEEPSB_llll, .Lfunc_end16-_ZN2at6native30max_unpooling3d_forward_kernelIN3c104HalfEEEvN5torch10headeronly6detail27GenericPackedTensorAccessorINS6_14TensorAccessorINS2_8ArrayRefIlEEKT_Lm3ENS5_16DefaultPtrTraitsElEENS_6detail16IndexBoundsCheckILm4ElEESC_Lm4ESD_lEENS7_INS8_ISA_KlLm3ESD_lEESH_SJ_Lm4ESD_lEEPSB_llll
                                        ; -- End function
	.set _ZN2at6native30max_unpooling3d_forward_kernelIN3c104HalfEEEvN5torch10headeronly6detail27GenericPackedTensorAccessorINS6_14TensorAccessorINS2_8ArrayRefIlEEKT_Lm3ENS5_16DefaultPtrTraitsElEENS_6detail16IndexBoundsCheckILm4ElEESC_Lm4ESD_lEENS7_INS8_ISA_KlLm3ESD_lEESH_SJ_Lm4ESD_lEEPSB_llll.num_vgpr, 8
	.set _ZN2at6native30max_unpooling3d_forward_kernelIN3c104HalfEEEvN5torch10headeronly6detail27GenericPackedTensorAccessorINS6_14TensorAccessorINS2_8ArrayRefIlEEKT_Lm3ENS5_16DefaultPtrTraitsElEENS_6detail16IndexBoundsCheckILm4ElEESC_Lm4ESD_lEENS7_INS8_ISA_KlLm3ESD_lEESH_SJ_Lm4ESD_lEEPSB_llll.num_agpr, 0
	.set _ZN2at6native30max_unpooling3d_forward_kernelIN3c104HalfEEEvN5torch10headeronly6detail27GenericPackedTensorAccessorINS6_14TensorAccessorINS2_8ArrayRefIlEEKT_Lm3ENS5_16DefaultPtrTraitsElEENS_6detail16IndexBoundsCheckILm4ElEESC_Lm4ESD_lEENS7_INS8_ISA_KlLm3ESD_lEESH_SJ_Lm4ESD_lEEPSB_llll.numbered_sgpr, 26
	.set _ZN2at6native30max_unpooling3d_forward_kernelIN3c104HalfEEEvN5torch10headeronly6detail27GenericPackedTensorAccessorINS6_14TensorAccessorINS2_8ArrayRefIlEEKT_Lm3ENS5_16DefaultPtrTraitsElEENS_6detail16IndexBoundsCheckILm4ElEESC_Lm4ESD_lEENS7_INS8_ISA_KlLm3ESD_lEESH_SJ_Lm4ESD_lEEPSB_llll.num_named_barrier, 0
	.set _ZN2at6native30max_unpooling3d_forward_kernelIN3c104HalfEEEvN5torch10headeronly6detail27GenericPackedTensorAccessorINS6_14TensorAccessorINS2_8ArrayRefIlEEKT_Lm3ENS5_16DefaultPtrTraitsElEENS_6detail16IndexBoundsCheckILm4ElEESC_Lm4ESD_lEENS7_INS8_ISA_KlLm3ESD_lEESH_SJ_Lm4ESD_lEEPSB_llll.private_seg_size, 0
	.set _ZN2at6native30max_unpooling3d_forward_kernelIN3c104HalfEEEvN5torch10headeronly6detail27GenericPackedTensorAccessorINS6_14TensorAccessorINS2_8ArrayRefIlEEKT_Lm3ENS5_16DefaultPtrTraitsElEENS_6detail16IndexBoundsCheckILm4ElEESC_Lm4ESD_lEENS7_INS8_ISA_KlLm3ESD_lEESH_SJ_Lm4ESD_lEEPSB_llll.uses_vcc, 1
	.set _ZN2at6native30max_unpooling3d_forward_kernelIN3c104HalfEEEvN5torch10headeronly6detail27GenericPackedTensorAccessorINS6_14TensorAccessorINS2_8ArrayRefIlEEKT_Lm3ENS5_16DefaultPtrTraitsElEENS_6detail16IndexBoundsCheckILm4ElEESC_Lm4ESD_lEENS7_INS8_ISA_KlLm3ESD_lEESH_SJ_Lm4ESD_lEEPSB_llll.uses_flat_scratch, 0
	.set _ZN2at6native30max_unpooling3d_forward_kernelIN3c104HalfEEEvN5torch10headeronly6detail27GenericPackedTensorAccessorINS6_14TensorAccessorINS2_8ArrayRefIlEEKT_Lm3ENS5_16DefaultPtrTraitsElEENS_6detail16IndexBoundsCheckILm4ElEESC_Lm4ESD_lEENS7_INS8_ISA_KlLm3ESD_lEESH_SJ_Lm4ESD_lEEPSB_llll.has_dyn_sized_stack, 0
	.set _ZN2at6native30max_unpooling3d_forward_kernelIN3c104HalfEEEvN5torch10headeronly6detail27GenericPackedTensorAccessorINS6_14TensorAccessorINS2_8ArrayRefIlEEKT_Lm3ENS5_16DefaultPtrTraitsElEENS_6detail16IndexBoundsCheckILm4ElEESC_Lm4ESD_lEENS7_INS8_ISA_KlLm3ESD_lEESH_SJ_Lm4ESD_lEEPSB_llll.has_recursion, 0
	.set _ZN2at6native30max_unpooling3d_forward_kernelIN3c104HalfEEEvN5torch10headeronly6detail27GenericPackedTensorAccessorINS6_14TensorAccessorINS2_8ArrayRefIlEEKT_Lm3ENS5_16DefaultPtrTraitsElEENS_6detail16IndexBoundsCheckILm4ElEESC_Lm4ESD_lEENS7_INS8_ISA_KlLm3ESD_lEESH_SJ_Lm4ESD_lEEPSB_llll.has_indirect_call, 0
	.section	.AMDGPU.csdata,"",@progbits
; Kernel info:
; codeLenInByte = 1260
; TotalNumSgprs: 28
; NumVgprs: 8
; ScratchSize: 0
; MemoryBound: 0
; FloatMode: 240
; IeeeMode: 1
; LDSByteSize: 0 bytes/workgroup (compile time only)
; SGPRBlocks: 0
; VGPRBlocks: 0
; NumSGPRsForWavesPerEU: 28
; NumVGPRsForWavesPerEU: 8
; NamedBarCnt: 0
; Occupancy: 16
; WaveLimiterHint : 1
; COMPUTE_PGM_RSRC2:SCRATCH_EN: 0
; COMPUTE_PGM_RSRC2:USER_SGPR: 2
; COMPUTE_PGM_RSRC2:TRAP_HANDLER: 0
; COMPUTE_PGM_RSRC2:TGID_X_EN: 1
; COMPUTE_PGM_RSRC2:TGID_Y_EN: 1
; COMPUTE_PGM_RSRC2:TGID_Z_EN: 1
; COMPUTE_PGM_RSRC2:TIDIG_COMP_CNT: 1
	.section	.text._ZN2at6native30max_unpooling3d_forward_kernelIN3c108BFloat16EEEvN5torch10headeronly6detail27GenericPackedTensorAccessorINS6_14TensorAccessorINS2_8ArrayRefIlEEKT_Lm3ENS5_16DefaultPtrTraitsElEENS_6detail16IndexBoundsCheckILm4ElEESC_Lm4ESD_lEENS7_INS8_ISA_KlLm3ESD_lEESH_SJ_Lm4ESD_lEEPSB_llll,"axG",@progbits,_ZN2at6native30max_unpooling3d_forward_kernelIN3c108BFloat16EEEvN5torch10headeronly6detail27GenericPackedTensorAccessorINS6_14TensorAccessorINS2_8ArrayRefIlEEKT_Lm3ENS5_16DefaultPtrTraitsElEENS_6detail16IndexBoundsCheckILm4ElEESC_Lm4ESD_lEENS7_INS8_ISA_KlLm3ESD_lEESH_SJ_Lm4ESD_lEEPSB_llll,comdat
	.protected	_ZN2at6native30max_unpooling3d_forward_kernelIN3c108BFloat16EEEvN5torch10headeronly6detail27GenericPackedTensorAccessorINS6_14TensorAccessorINS2_8ArrayRefIlEEKT_Lm3ENS5_16DefaultPtrTraitsElEENS_6detail16IndexBoundsCheckILm4ElEESC_Lm4ESD_lEENS7_INS8_ISA_KlLm3ESD_lEESH_SJ_Lm4ESD_lEEPSB_llll ; -- Begin function _ZN2at6native30max_unpooling3d_forward_kernelIN3c108BFloat16EEEvN5torch10headeronly6detail27GenericPackedTensorAccessorINS6_14TensorAccessorINS2_8ArrayRefIlEEKT_Lm3ENS5_16DefaultPtrTraitsElEENS_6detail16IndexBoundsCheckILm4ElEESC_Lm4ESD_lEENS7_INS8_ISA_KlLm3ESD_lEESH_SJ_Lm4ESD_lEEPSB_llll
	.globl	_ZN2at6native30max_unpooling3d_forward_kernelIN3c108BFloat16EEEvN5torch10headeronly6detail27GenericPackedTensorAccessorINS6_14TensorAccessorINS2_8ArrayRefIlEEKT_Lm3ENS5_16DefaultPtrTraitsElEENS_6detail16IndexBoundsCheckILm4ElEESC_Lm4ESD_lEENS7_INS8_ISA_KlLm3ESD_lEESH_SJ_Lm4ESD_lEEPSB_llll
	.p2align	8
	.type	_ZN2at6native30max_unpooling3d_forward_kernelIN3c108BFloat16EEEvN5torch10headeronly6detail27GenericPackedTensorAccessorINS6_14TensorAccessorINS2_8ArrayRefIlEEKT_Lm3ENS5_16DefaultPtrTraitsElEENS_6detail16IndexBoundsCheckILm4ElEESC_Lm4ESD_lEENS7_INS8_ISA_KlLm3ESD_lEESH_SJ_Lm4ESD_lEEPSB_llll,@function
_ZN2at6native30max_unpooling3d_forward_kernelIN3c108BFloat16EEEvN5torch10headeronly6detail27GenericPackedTensorAccessorINS6_14TensorAccessorINS2_8ArrayRefIlEEKT_Lm3ENS5_16DefaultPtrTraitsElEENS_6detail16IndexBoundsCheckILm4ElEESC_Lm4ESD_lEENS7_INS8_ISA_KlLm3ESD_lEESH_SJ_Lm4ESD_lEEPSB_llll: ; @_ZN2at6native30max_unpooling3d_forward_kernelIN3c108BFloat16EEEvN5torch10headeronly6detail27GenericPackedTensorAccessorINS6_14TensorAccessorINS2_8ArrayRefIlEEKT_Lm3ENS5_16DefaultPtrTraitsElEENS_6detail16IndexBoundsCheckILm4ElEESC_Lm4ESD_lEENS7_INS8_ISA_KlLm3ESD_lEESH_SJ_Lm4ESD_lEEPSB_llll
; %bb.0:
	s_clause 0x1
	s_load_b64 s[6:7], s[0:1], 0xb0
	s_load_b64 s[4:5], s[0:1], 0x10
	s_bfe_u32 s2, ttmp6, 0x40014
	s_lshr_b32 s8, ttmp7, 16
	s_add_co_i32 s2, s2, 1
	s_bfe_u32 s3, ttmp6, 0x40008
	s_mul_i32 s2, s8, s2
	s_getreg_b32 s14, hwreg(HW_REG_IB_STS2, 6, 4)
	s_add_co_i32 s2, s3, s2
	s_cmp_eq_u32 s14, 0
	s_mov_b32 s3, 0
	s_cselect_b32 s2, s8, s2
	s_wait_kmcnt 0x0
	s_add_nc_u64 s[6:7], s[6:7], s[2:3]
	s_delay_alu instid0(SALU_CYCLE_1) | instskip(NEXT) | instid1(SALU_CYCLE_1)
	s_or_b64 s[8:9], s[6:7], s[4:5]
	s_and_b64 s[8:9], s[8:9], 0xffffffff00000000
	s_delay_alu instid0(SALU_CYCLE_1)
	s_cmp_lg_u64 s[8:9], 0
	s_cbranch_scc0 .LBB17_8
; %bb.1:
	s_ashr_i32 s8, s5, 31
	s_delay_alu instid0(SALU_CYCLE_1) | instskip(NEXT) | instid1(SALU_CYCLE_1)
	s_mov_b32 s9, s8
	s_add_nc_u64 s[10:11], s[4:5], s[8:9]
	s_delay_alu instid0(SALU_CYCLE_1) | instskip(NEXT) | instid1(SALU_CYCLE_1)
	s_xor_b64 s[10:11], s[10:11], s[8:9]
	s_cvt_f32_u32 s2, s10
	s_cvt_f32_u32 s12, s11
	s_sub_nc_u64 s[16:17], 0, s[10:11]
	s_delay_alu instid0(SALU_CYCLE_2) | instskip(NEXT) | instid1(SALU_CYCLE_3)
	s_fmamk_f32 s2, s12, 0x4f800000, s2
	v_s_rcp_f32 s2, s2
	s_delay_alu instid0(TRANS32_DEP_1) | instskip(NEXT) | instid1(SALU_CYCLE_3)
	s_mul_f32 s2, s2, 0x5f7ffffc
	s_mul_f32 s12, s2, 0x2f800000
	s_delay_alu instid0(SALU_CYCLE_3) | instskip(NEXT) | instid1(SALU_CYCLE_3)
	s_trunc_f32 s12, s12
	s_fmamk_f32 s2, s12, 0xcf800000, s2
	s_cvt_u32_f32 s13, s12
	s_delay_alu instid0(SALU_CYCLE_2) | instskip(NEXT) | instid1(SALU_CYCLE_3)
	s_cvt_u32_f32 s12, s2
	s_mul_u64 s[18:19], s[16:17], s[12:13]
	s_delay_alu instid0(SALU_CYCLE_1)
	s_mul_hi_u32 s21, s12, s19
	s_mul_i32 s20, s12, s19
	s_mul_hi_u32 s2, s12, s18
	s_mul_i32 s22, s13, s18
	s_add_nc_u64 s[20:21], s[2:3], s[20:21]
	s_mul_hi_u32 s15, s13, s18
	s_mul_hi_u32 s23, s13, s19
	s_add_co_u32 s2, s20, s22
	s_add_co_ci_u32 s2, s21, s15
	s_mul_i32 s18, s13, s19
	s_add_co_ci_u32 s19, s23, 0
	s_delay_alu instid0(SALU_CYCLE_1) | instskip(NEXT) | instid1(SALU_CYCLE_1)
	s_add_nc_u64 s[18:19], s[2:3], s[18:19]
	s_add_co_u32 s12, s12, s18
	s_cselect_b32 s2, -1, 0
	s_delay_alu instid0(SALU_CYCLE_1) | instskip(SKIP_1) | instid1(SALU_CYCLE_1)
	s_cmp_lg_u32 s2, 0
	s_add_co_ci_u32 s13, s13, s19
	s_mul_u64 s[16:17], s[16:17], s[12:13]
	s_delay_alu instid0(SALU_CYCLE_1)
	s_mul_hi_u32 s19, s12, s17
	s_mul_i32 s18, s12, s17
	s_mul_hi_u32 s2, s12, s16
	s_mul_i32 s20, s13, s16
	s_add_nc_u64 s[18:19], s[2:3], s[18:19]
	s_mul_hi_u32 s15, s13, s16
	s_mul_hi_u32 s21, s13, s17
	s_add_co_u32 s2, s18, s20
	s_add_co_ci_u32 s2, s19, s15
	s_mul_i32 s16, s13, s17
	s_add_co_ci_u32 s17, s21, 0
	s_delay_alu instid0(SALU_CYCLE_1) | instskip(NEXT) | instid1(SALU_CYCLE_1)
	s_add_nc_u64 s[16:17], s[2:3], s[16:17]
	s_add_co_u32 s15, s12, s16
	s_cselect_b32 s2, -1, 0
	s_delay_alu instid0(SALU_CYCLE_1) | instskip(SKIP_2) | instid1(SALU_CYCLE_1)
	s_cmp_lg_u32 s2, 0
	s_add_co_ci_u32 s20, s13, s17
	s_ashr_i32 s12, s7, 31
	s_mov_b32 s13, s12
	s_delay_alu instid0(SALU_CYCLE_1) | instskip(NEXT) | instid1(SALU_CYCLE_1)
	s_add_nc_u64 s[16:17], s[6:7], s[12:13]
	s_xor_b64 s[16:17], s[16:17], s[12:13]
	s_delay_alu instid0(SALU_CYCLE_1)
	s_mul_hi_u32 s19, s16, s20
	s_mul_i32 s18, s16, s20
	s_mul_hi_u32 s2, s16, s15
	s_mul_hi_u32 s22, s17, s15
	s_mul_i32 s15, s17, s15
	s_add_nc_u64 s[18:19], s[2:3], s[18:19]
	s_mul_hi_u32 s21, s17, s20
	s_add_co_u32 s2, s18, s15
	s_add_co_ci_u32 s2, s19, s22
	s_mul_i32 s20, s17, s20
	s_add_co_ci_u32 s21, s21, 0
	s_delay_alu instid0(SALU_CYCLE_1) | instskip(NEXT) | instid1(SALU_CYCLE_1)
	s_add_nc_u64 s[18:19], s[2:3], s[20:21]
	s_and_b64 s[20:21], s[18:19], 0xffffffff00000000
	s_delay_alu instid0(SALU_CYCLE_1) | instskip(NEXT) | instid1(SALU_CYCLE_1)
	s_or_b32 s20, s20, s18
	s_mul_u64 s[18:19], s[10:11], s[20:21]
	s_delay_alu instid0(SALU_CYCLE_1)
	s_sub_co_u32 s2, s16, s18
	s_cselect_b32 s15, -1, 0
	s_sub_co_i32 s16, s17, s19
	s_cmp_lg_u32 s15, 0
	s_sub_co_ci_u32 s16, s16, s11
	s_sub_co_u32 s18, s2, s10
	s_cselect_b32 s22, -1, 0
	s_delay_alu instid0(SALU_CYCLE_1) | instskip(SKIP_2) | instid1(SALU_CYCLE_1)
	s_cmp_lg_u32 s22, 0
	s_add_nc_u64 s[22:23], s[20:21], 1
	s_sub_co_ci_u32 s16, s16, 0
	s_cmp_ge_u32 s16, s11
	s_cselect_b32 s24, -1, 0
	s_cmp_ge_u32 s18, s10
	s_cselect_b32 s18, -1, 0
	s_cmp_eq_u32 s16, s11
	s_cselect_b32 s16, s18, s24
	s_add_nc_u64 s[24:25], s[20:21], 2
	s_cmp_lg_u32 s16, 0
	s_cselect_b32 s16, s24, s22
	s_cselect_b32 s18, s25, s23
	s_cmp_lg_u32 s15, 0
	s_sub_co_ci_u32 s15, s17, s19
	s_delay_alu instid0(SALU_CYCLE_1)
	s_cmp_ge_u32 s15, s11
	s_cselect_b32 s17, -1, 0
	s_cmp_ge_u32 s2, s10
	s_cselect_b32 s2, -1, 0
	s_cmp_eq_u32 s15, s11
	s_cselect_b32 s2, s2, s17
	s_delay_alu instid0(SALU_CYCLE_1) | instskip(SKIP_3) | instid1(SALU_CYCLE_1)
	s_cmp_lg_u32 s2, 0
	s_cselect_b32 s11, s18, s21
	s_cselect_b32 s10, s16, s20
	s_xor_b64 s[8:9], s[12:13], s[8:9]
	s_xor_b64 s[10:11], s[10:11], s[8:9]
	s_delay_alu instid0(SALU_CYCLE_1)
	s_sub_nc_u64 s[12:13], s[10:11], s[8:9]
	s_load_b32 s2, s[0:1], 0xc4
	s_and_not1_b32 vcc_lo, exec_lo, s3
	s_cbranch_vccnz .LBB17_3
.LBB17_2:
	v_cvt_f32_u32_e32 v1, s4
	s_sub_co_i32 s8, 0, s4
	s_mov_b32 s13, 0
	s_delay_alu instid0(VALU_DEP_1) | instskip(SKIP_1) | instid1(TRANS32_DEP_1)
	v_rcp_iflag_f32_e32 v1, v1
	v_nop
	v_mul_f32_e32 v1, 0x4f7ffffe, v1
	s_delay_alu instid0(VALU_DEP_1) | instskip(NEXT) | instid1(VALU_DEP_1)
	v_cvt_u32_f32_e32 v1, v1
	v_readfirstlane_b32 s3, v1
	s_mul_i32 s8, s8, s3
	s_delay_alu instid0(SALU_CYCLE_1) | instskip(NEXT) | instid1(SALU_CYCLE_1)
	s_mul_hi_u32 s8, s3, s8
	s_add_co_i32 s3, s3, s8
	s_delay_alu instid0(SALU_CYCLE_1) | instskip(NEXT) | instid1(SALU_CYCLE_1)
	s_mul_hi_u32 s3, s6, s3
	s_mul_i32 s8, s3, s4
	s_add_co_i32 s9, s3, 1
	s_sub_co_i32 s8, s6, s8
	s_delay_alu instid0(SALU_CYCLE_1)
	s_sub_co_i32 s10, s8, s4
	s_cmp_ge_u32 s8, s4
	s_cselect_b32 s3, s9, s3
	s_cselect_b32 s8, s10, s8
	s_add_co_i32 s9, s3, 1
	s_cmp_ge_u32 s8, s4
	s_cselect_b32 s12, s9, s3
.LBB17_3:
	s_bfe_u32 s8, ttmp6, 0x40010
	s_and_b32 s15, ttmp7, 0xffff
	s_add_co_i32 s8, s8, 1
	s_bfe_u32 s17, ttmp6, 0x40004
	s_mul_i32 s16, s15, s8
	s_bfe_u32 s8, ttmp6, 0x4000c
	s_and_b32 s18, ttmp6, 15
	s_add_co_i32 s8, s8, 1
	s_wait_kmcnt 0x0
	s_lshr_b32 s3, s2, 16
	s_mul_i32 s19, ttmp9, s8
	s_load_b128 s[8:11], s[0:1], 0x18
	v_and_b32_e32 v2, 0x3ff, v0
	v_mov_b32_e32 v3, 0
	s_and_b32 s2, s2, 0xffff
	s_add_co_i32 s17, s17, s16
	s_add_co_i32 s18, s18, s19
	v_bfe_u32 v4, v0, 10, 10
	s_cmp_eq_u32 s14, 0
	s_cselect_b32 s14, ttmp9, s18
	s_cselect_b32 s15, s15, s17
	v_mad_nc_u64_u32 v[0:1], s2, s14, v[2:3]
	v_mad_u32 v2, s15, s3, v4
	s_wait_kmcnt 0x0
	s_delay_alu instid0(VALU_DEP_2) | instskip(NEXT) | instid1(VALU_DEP_2)
	v_cmp_gt_i64_e64 s2, s[10:11], v[0:1]
	v_cmp_gt_i64_e32 vcc_lo, s[8:9], v[2:3]
	s_and_b32 s2, vcc_lo, s2
	s_delay_alu instid0(SALU_CYCLE_1)
	s_and_saveexec_b32 s3, s2
	s_cbranch_execz .LBB17_7
; %bb.4:
	s_clause 0x1
	s_load_b256 s[16:23], s[0:1], 0x70
	s_load_b64 s[2:3], s[0:1], 0x48
	s_mul_u64 s[4:5], s[12:13], s[4:5]
	s_delay_alu instid0(SALU_CYCLE_1)
	s_sub_nc_u64 s[14:15], s[6:7], s[4:5]
	s_wait_kmcnt 0x0
	v_mul_u64_e32 v[4:5], s[20:21], v[2:3]
	v_mul_u64_e32 v[6:7], s[22:23], v[0:1]
	s_mul_u64 s[4:5], s[16:17], s[12:13]
	s_mul_u64 s[6:7], s[18:19], s[14:15]
	s_lshl_b64 s[4:5], s[4:5], 3
	s_lshl_b64 s[6:7], s[6:7], 3
	s_add_nc_u64 s[2:3], s[2:3], s[4:5]
	s_delay_alu instid0(SALU_CYCLE_1) | instskip(SKIP_1) | instid1(VALU_DEP_2)
	s_add_nc_u64 s[2:3], s[2:3], s[6:7]
	s_load_b256 s[4:11], s[0:1], 0x90
	v_lshl_add_u64 v[4:5], v[4:5], 3, s[2:3]
	s_wait_kmcnt 0x0
	s_mul_u64 s[2:3], s[8:9], s[6:7]
	s_delay_alu instid0(SALU_CYCLE_1) | instskip(NEXT) | instid1(VALU_DEP_1)
	s_mul_u64 s[6:7], s[2:3], s[10:11]
	v_lshl_add_u64 v[4:5], v[6:7], 3, v[4:5]
	global_load_b64 v[4:5], v[4:5], off
	s_wait_loadcnt 0x0
	v_cmp_lt_i64_e32 vcc_lo, -1, v[4:5]
	v_cmp_gt_i64_e64 s2, s[6:7], v[4:5]
	s_and_b32 s2, vcc_lo, s2
	s_delay_alu instid0(SALU_CYCLE_1) | instskip(NEXT) | instid1(SALU_CYCLE_1)
	s_and_saveexec_b32 s3, s2
	s_xor_b32 s2, exec_lo, s3
	s_cbranch_execz .LBB17_6
; %bb.5:
	s_load_b256 s[16:23], s[0:1], 0x28
	s_wait_kmcnt 0x0
	v_mul_u64_e32 v[2:3], s[20:21], v[2:3]
	v_mul_u64_e32 v[0:1], s[22:23], v[0:1]
	s_load_b64 s[0:1], s[0:1], 0x0
	s_mul_u64 s[8:9], s[16:17], s[12:13]
	s_mul_u64 s[10:11], s[18:19], s[14:15]
	s_lshl_b64 s[8:9], s[8:9], 1
	s_wait_kmcnt 0x0
	s_add_nc_u64 s[0:1], s[0:1], s[8:9]
	s_lshl_b64 s[8:9], s[10:11], 1
	s_delay_alu instid0(SALU_CYCLE_1)
	s_add_nc_u64 s[0:1], s[0:1], s[8:9]
	s_delay_alu instid0(VALU_DEP_2) | instid1(SALU_CYCLE_1)
	v_lshl_add_u64 v[2:3], v[2:3], 1, s[0:1]
	s_mul_u64 s[0:1], s[6:7], s[12:13]
	s_delay_alu instid0(SALU_CYCLE_1) | instskip(NEXT) | instid1(SALU_CYCLE_1)
	s_lshl_b64 s[0:1], s[0:1], 1
	s_add_nc_u64 s[0:1], s[4:5], s[0:1]
	s_delay_alu instid0(VALU_DEP_1)
	v_lshl_add_u64 v[0:1], v[0:1], 1, v[2:3]
	global_load_u16 v2, v[0:1], off
	s_wait_xcnt 0x0
	v_lshl_add_u64 v[0:1], v[4:5], 1, s[0:1]
	s_wait_loadcnt 0x0
	global_store_b16 v[0:1], v2, off
.LBB17_6:
	s_wait_xcnt 0x0
	s_and_not1_saveexec_b32 s0, s2
	s_cbranch_execnz .LBB17_9
.LBB17_7:
	s_endpgm
.LBB17_8:
                                        ; implicit-def: $sgpr12_sgpr13
	s_load_b32 s2, s[0:1], 0xc4
	s_branch .LBB17_2
.LBB17_9:
	s_trap 2
	; divergent unreachable
	s_endpgm
	.section	.rodata,"a",@progbits
	.p2align	6, 0x0
	.amdhsa_kernel _ZN2at6native30max_unpooling3d_forward_kernelIN3c108BFloat16EEEvN5torch10headeronly6detail27GenericPackedTensorAccessorINS6_14TensorAccessorINS2_8ArrayRefIlEEKT_Lm3ENS5_16DefaultPtrTraitsElEENS_6detail16IndexBoundsCheckILm4ElEESC_Lm4ESD_lEENS7_INS8_ISA_KlLm3ESD_lEESH_SJ_Lm4ESD_lEEPSB_llll
		.amdhsa_group_segment_fixed_size 0
		.amdhsa_private_segment_fixed_size 0
		.amdhsa_kernarg_size 440
		.amdhsa_user_sgpr_count 2
		.amdhsa_user_sgpr_dispatch_ptr 0
		.amdhsa_user_sgpr_queue_ptr 0
		.amdhsa_user_sgpr_kernarg_segment_ptr 1
		.amdhsa_user_sgpr_dispatch_id 0
		.amdhsa_user_sgpr_kernarg_preload_length 0
		.amdhsa_user_sgpr_kernarg_preload_offset 0
		.amdhsa_user_sgpr_private_segment_size 0
		.amdhsa_wavefront_size32 1
		.amdhsa_uses_dynamic_stack 0
		.amdhsa_enable_private_segment 0
		.amdhsa_system_sgpr_workgroup_id_x 1
		.amdhsa_system_sgpr_workgroup_id_y 1
		.amdhsa_system_sgpr_workgroup_id_z 1
		.amdhsa_system_sgpr_workgroup_info 0
		.amdhsa_system_vgpr_workitem_id 1
		.amdhsa_next_free_vgpr 8
		.amdhsa_next_free_sgpr 26
		.amdhsa_named_barrier_count 0
		.amdhsa_reserve_vcc 1
		.amdhsa_float_round_mode_32 0
		.amdhsa_float_round_mode_16_64 0
		.amdhsa_float_denorm_mode_32 3
		.amdhsa_float_denorm_mode_16_64 3
		.amdhsa_fp16_overflow 0
		.amdhsa_memory_ordered 1
		.amdhsa_forward_progress 1
		.amdhsa_inst_pref_size 10
		.amdhsa_round_robin_scheduling 0
		.amdhsa_exception_fp_ieee_invalid_op 0
		.amdhsa_exception_fp_denorm_src 0
		.amdhsa_exception_fp_ieee_div_zero 0
		.amdhsa_exception_fp_ieee_overflow 0
		.amdhsa_exception_fp_ieee_underflow 0
		.amdhsa_exception_fp_ieee_inexact 0
		.amdhsa_exception_int_div_zero 0
	.end_amdhsa_kernel
	.section	.text._ZN2at6native30max_unpooling3d_forward_kernelIN3c108BFloat16EEEvN5torch10headeronly6detail27GenericPackedTensorAccessorINS6_14TensorAccessorINS2_8ArrayRefIlEEKT_Lm3ENS5_16DefaultPtrTraitsElEENS_6detail16IndexBoundsCheckILm4ElEESC_Lm4ESD_lEENS7_INS8_ISA_KlLm3ESD_lEESH_SJ_Lm4ESD_lEEPSB_llll,"axG",@progbits,_ZN2at6native30max_unpooling3d_forward_kernelIN3c108BFloat16EEEvN5torch10headeronly6detail27GenericPackedTensorAccessorINS6_14TensorAccessorINS2_8ArrayRefIlEEKT_Lm3ENS5_16DefaultPtrTraitsElEENS_6detail16IndexBoundsCheckILm4ElEESC_Lm4ESD_lEENS7_INS8_ISA_KlLm3ESD_lEESH_SJ_Lm4ESD_lEEPSB_llll,comdat
.Lfunc_end17:
	.size	_ZN2at6native30max_unpooling3d_forward_kernelIN3c108BFloat16EEEvN5torch10headeronly6detail27GenericPackedTensorAccessorINS6_14TensorAccessorINS2_8ArrayRefIlEEKT_Lm3ENS5_16DefaultPtrTraitsElEENS_6detail16IndexBoundsCheckILm4ElEESC_Lm4ESD_lEENS7_INS8_ISA_KlLm3ESD_lEESH_SJ_Lm4ESD_lEEPSB_llll, .Lfunc_end17-_ZN2at6native30max_unpooling3d_forward_kernelIN3c108BFloat16EEEvN5torch10headeronly6detail27GenericPackedTensorAccessorINS6_14TensorAccessorINS2_8ArrayRefIlEEKT_Lm3ENS5_16DefaultPtrTraitsElEENS_6detail16IndexBoundsCheckILm4ElEESC_Lm4ESD_lEENS7_INS8_ISA_KlLm3ESD_lEESH_SJ_Lm4ESD_lEEPSB_llll
                                        ; -- End function
	.set _ZN2at6native30max_unpooling3d_forward_kernelIN3c108BFloat16EEEvN5torch10headeronly6detail27GenericPackedTensorAccessorINS6_14TensorAccessorINS2_8ArrayRefIlEEKT_Lm3ENS5_16DefaultPtrTraitsElEENS_6detail16IndexBoundsCheckILm4ElEESC_Lm4ESD_lEENS7_INS8_ISA_KlLm3ESD_lEESH_SJ_Lm4ESD_lEEPSB_llll.num_vgpr, 8
	.set _ZN2at6native30max_unpooling3d_forward_kernelIN3c108BFloat16EEEvN5torch10headeronly6detail27GenericPackedTensorAccessorINS6_14TensorAccessorINS2_8ArrayRefIlEEKT_Lm3ENS5_16DefaultPtrTraitsElEENS_6detail16IndexBoundsCheckILm4ElEESC_Lm4ESD_lEENS7_INS8_ISA_KlLm3ESD_lEESH_SJ_Lm4ESD_lEEPSB_llll.num_agpr, 0
	.set _ZN2at6native30max_unpooling3d_forward_kernelIN3c108BFloat16EEEvN5torch10headeronly6detail27GenericPackedTensorAccessorINS6_14TensorAccessorINS2_8ArrayRefIlEEKT_Lm3ENS5_16DefaultPtrTraitsElEENS_6detail16IndexBoundsCheckILm4ElEESC_Lm4ESD_lEENS7_INS8_ISA_KlLm3ESD_lEESH_SJ_Lm4ESD_lEEPSB_llll.numbered_sgpr, 26
	.set _ZN2at6native30max_unpooling3d_forward_kernelIN3c108BFloat16EEEvN5torch10headeronly6detail27GenericPackedTensorAccessorINS6_14TensorAccessorINS2_8ArrayRefIlEEKT_Lm3ENS5_16DefaultPtrTraitsElEENS_6detail16IndexBoundsCheckILm4ElEESC_Lm4ESD_lEENS7_INS8_ISA_KlLm3ESD_lEESH_SJ_Lm4ESD_lEEPSB_llll.num_named_barrier, 0
	.set _ZN2at6native30max_unpooling3d_forward_kernelIN3c108BFloat16EEEvN5torch10headeronly6detail27GenericPackedTensorAccessorINS6_14TensorAccessorINS2_8ArrayRefIlEEKT_Lm3ENS5_16DefaultPtrTraitsElEENS_6detail16IndexBoundsCheckILm4ElEESC_Lm4ESD_lEENS7_INS8_ISA_KlLm3ESD_lEESH_SJ_Lm4ESD_lEEPSB_llll.private_seg_size, 0
	.set _ZN2at6native30max_unpooling3d_forward_kernelIN3c108BFloat16EEEvN5torch10headeronly6detail27GenericPackedTensorAccessorINS6_14TensorAccessorINS2_8ArrayRefIlEEKT_Lm3ENS5_16DefaultPtrTraitsElEENS_6detail16IndexBoundsCheckILm4ElEESC_Lm4ESD_lEENS7_INS8_ISA_KlLm3ESD_lEESH_SJ_Lm4ESD_lEEPSB_llll.uses_vcc, 1
	.set _ZN2at6native30max_unpooling3d_forward_kernelIN3c108BFloat16EEEvN5torch10headeronly6detail27GenericPackedTensorAccessorINS6_14TensorAccessorINS2_8ArrayRefIlEEKT_Lm3ENS5_16DefaultPtrTraitsElEENS_6detail16IndexBoundsCheckILm4ElEESC_Lm4ESD_lEENS7_INS8_ISA_KlLm3ESD_lEESH_SJ_Lm4ESD_lEEPSB_llll.uses_flat_scratch, 0
	.set _ZN2at6native30max_unpooling3d_forward_kernelIN3c108BFloat16EEEvN5torch10headeronly6detail27GenericPackedTensorAccessorINS6_14TensorAccessorINS2_8ArrayRefIlEEKT_Lm3ENS5_16DefaultPtrTraitsElEENS_6detail16IndexBoundsCheckILm4ElEESC_Lm4ESD_lEENS7_INS8_ISA_KlLm3ESD_lEESH_SJ_Lm4ESD_lEEPSB_llll.has_dyn_sized_stack, 0
	.set _ZN2at6native30max_unpooling3d_forward_kernelIN3c108BFloat16EEEvN5torch10headeronly6detail27GenericPackedTensorAccessorINS6_14TensorAccessorINS2_8ArrayRefIlEEKT_Lm3ENS5_16DefaultPtrTraitsElEENS_6detail16IndexBoundsCheckILm4ElEESC_Lm4ESD_lEENS7_INS8_ISA_KlLm3ESD_lEESH_SJ_Lm4ESD_lEEPSB_llll.has_recursion, 0
	.set _ZN2at6native30max_unpooling3d_forward_kernelIN3c108BFloat16EEEvN5torch10headeronly6detail27GenericPackedTensorAccessorINS6_14TensorAccessorINS2_8ArrayRefIlEEKT_Lm3ENS5_16DefaultPtrTraitsElEENS_6detail16IndexBoundsCheckILm4ElEESC_Lm4ESD_lEENS7_INS8_ISA_KlLm3ESD_lEESH_SJ_Lm4ESD_lEEPSB_llll.has_indirect_call, 0
	.section	.AMDGPU.csdata,"",@progbits
; Kernel info:
; codeLenInByte = 1260
; TotalNumSgprs: 28
; NumVgprs: 8
; ScratchSize: 0
; MemoryBound: 0
; FloatMode: 240
; IeeeMode: 1
; LDSByteSize: 0 bytes/workgroup (compile time only)
; SGPRBlocks: 0
; VGPRBlocks: 0
; NumSGPRsForWavesPerEU: 28
; NumVGPRsForWavesPerEU: 8
; NamedBarCnt: 0
; Occupancy: 16
; WaveLimiterHint : 1
; COMPUTE_PGM_RSRC2:SCRATCH_EN: 0
; COMPUTE_PGM_RSRC2:USER_SGPR: 2
; COMPUTE_PGM_RSRC2:TRAP_HANDLER: 0
; COMPUTE_PGM_RSRC2:TGID_X_EN: 1
; COMPUTE_PGM_RSRC2:TGID_Y_EN: 1
; COMPUTE_PGM_RSRC2:TGID_Z_EN: 1
; COMPUTE_PGM_RSRC2:TIDIG_COMP_CNT: 1
	.section	.text._ZN2at6native31max_unpooling2d_backward_kernelIhEEvlPKT_PKllllllPS2_,"axG",@progbits,_ZN2at6native31max_unpooling2d_backward_kernelIhEEvlPKT_PKllllllPS2_,comdat
	.protected	_ZN2at6native31max_unpooling2d_backward_kernelIhEEvlPKT_PKllllllPS2_ ; -- Begin function _ZN2at6native31max_unpooling2d_backward_kernelIhEEvlPKT_PKllllllPS2_
	.globl	_ZN2at6native31max_unpooling2d_backward_kernelIhEEvlPKT_PKllllllPS2_
	.p2align	8
	.type	_ZN2at6native31max_unpooling2d_backward_kernelIhEEvlPKT_PKllllllPS2_,@function
_ZN2at6native31max_unpooling2d_backward_kernelIhEEvlPKT_PKllllllPS2_: ; @_ZN2at6native31max_unpooling2d_backward_kernelIhEEvlPKT_PKllllllPS2_
; %bb.0:
	s_load_b32 s2, s[0:1], 0x54
	s_bfe_u32 s4, ttmp6, 0x4000c
	v_mov_b32_e32 v2, 0
	s_add_co_i32 s21, s4, 1
	s_load_b512 s[4:19], s[0:1], 0x0
	s_and_b32 s3, ttmp6, 15
	s_mul_i32 s21, ttmp9, s21
	s_getreg_b32 s20, hwreg(HW_REG_IB_STS2, 6, 4)
	v_mov_b32_e32 v1, v2
	s_add_co_i32 s3, s3, s21
	s_wait_kmcnt 0x0
	s_and_b32 s2, s2, 0xffff
	s_cmp_eq_u32 s20, 0
	s_mov_b32 s20, exec_lo
	s_cselect_b32 s3, ttmp9, s3
	s_delay_alu instid0(SALU_CYCLE_1) | instskip(SKIP_1) | instid1(VALU_DEP_1)
	v_mad_nc_u64_u32 v[0:1], s2, s3, v[0:1]
	s_mov_b32 s3, 0
	v_cmpx_gt_i64_e64 s[4:5], v[0:1]
	s_cbranch_execz .LBB18_15
; %bb.1:
	v_cvt_f32_u32_e32 v3, s14
	s_sub_co_i32 s22, 0, s14
	s_add_nc_u64 s[20:21], s[0:1], 0x48
	v_mov_b64_e32 v[4:5], s[6:7]
	s_load_b32 s23, s[20:21], 0x0
	v_rcp_iflag_f32_e32 v3, v3
	s_wait_xcnt 0x0
	s_load_b64 s[20:21], s[0:1], 0x40
	s_mul_u64 s[16:17], s[18:19], s[16:17]
	s_mov_b32 s19, s3
	s_mov_b64 s[6:7], 0xffffffff
	s_ashr_i32 s24, s15, 31
	s_ashr_i32 s26, s13, 31
	v_nop
	v_mul_f32_e32 v3, 0x4f7ffffe, v3
	s_wait_xcnt 0x0
	s_mov_b32 s1, 0
	s_delay_alu instid0(VALU_DEP_1) | instskip(NEXT) | instid1(VALU_DEP_1)
	v_cvt_u32_f32_e32 v6, v3
	v_mul_lo_u32 v3, s22, v6
	s_mov_b32 s22, s3
	s_wait_kmcnt 0x0
	s_mul_i32 s18, s23, s2
	s_delay_alu instid0(SALU_CYCLE_1) | instskip(NEXT) | instid1(VALU_DEP_1)
	s_mov_b32 s23, s18
	v_mul_hi_u32 v7, v6, v3
	s_delay_alu instid0(VALU_DEP_1) | instskip(NEXT) | instid1(VALU_DEP_1)
	v_dual_mov_b32 v3, v0 :: v_dual_add_nc_u32 v14, v6, v7
	v_mov_b64_e32 v[6:7], v[2:3]
	s_branch .LBB18_3
.LBB18_2:                               ;   in Loop: Header=BB18_3 Depth=1
	s_or_b32 exec_lo, exec_lo, s0
	v_lshl_add_u64 v[16:17], v[8:9], 3, s[8:9]
	s_delay_alu instid0(VALU_DEP_2)
	v_mul_lo_u32 v3, v12, s10
	v_add_nc_u64_e32 v[0:1], s[18:19], v[0:1]
	v_add_nc_u64_e32 v[8:9], s[20:21], v[8:9]
	v_add_nc_u64_e32 v[6:7], s[22:23], v[6:7]
	global_load_b32 v16, v[16:17], off
	v_cmp_le_i64_e32 vcc_lo, s[4:5], v[0:1]
	v_dual_sub_nc_u32 v10, v10, v3 :: v_dual_ashrrev_i32 v3, 31, v12
	s_or_b32 s1, vcc_lo, s1
	s_wait_loadcnt 0x0
	s_wait_xcnt 0x0
	s_delay_alu instid0(VALU_DEP_1) | instskip(NEXT) | instid1(VALU_DEP_1)
	v_dual_ashrrev_i32 v11, 31, v10 :: v_dual_ashrrev_i32 v17, 31, v16
	v_mad_nc_u64_u32 v[10:11], v12, s10, v[10:11]
	s_delay_alu instid0(VALU_DEP_1) | instskip(NEXT) | instid1(VALU_DEP_2)
	v_mad_u32 v3, v3, s10, v11
	v_mad_nc_u64_u32 v[4:5], s16, v10, v[4:5]
	s_delay_alu instid0(VALU_DEP_2) | instskip(NEXT) | instid1(VALU_DEP_2)
	v_mad_u32 v3, v12, s11, v3
	v_mad_u32 v5, s17, v10, v5
	s_delay_alu instid0(VALU_DEP_1) | instskip(NEXT) | instid1(VALU_DEP_1)
	v_mad_u32 v5, s16, v3, v5
	v_add_nc_u64_e32 v[10:11], v[4:5], v[16:17]
	global_load_u8 v3, v[10:11], off
	s_wait_loadcnt 0x0
	global_store_b8 v[8:9], v3, off
	s_wait_xcnt 0x0
	s_and_not1_b32 exec_lo, exec_lo, s1
	s_cbranch_execz .LBB18_15
.LBB18_3:                               ; =>This Inner Loop Header: Depth=1
	s_delay_alu instid0(VALU_DEP_1) | instskip(SKIP_1) | instid1(VALU_DEP_1)
	v_dual_mov_b32 v8, v7 :: v_dual_ashrrev_i32 v9, 31, v7
                                        ; implicit-def: $vgpr12_vgpr13
	s_mov_b32 s0, exec_lo
	v_or_b32_e32 v3, s15, v9
	s_delay_alu instid0(VALU_DEP_1)
	v_cmpx_ne_u64_e32 0, v[2:3]
	s_xor_b32 s27, exec_lo, s0
	s_cbranch_execz .LBB18_5
; %bb.4:                                ;   in Loop: Header=BB18_3 Depth=1
	s_mov_b32 s25, s24
	v_dual_mov_b32 v17, v2 :: v_dual_ashrrev_i32 v10, 31, v9
	s_add_nc_u64 s[28:29], s[14:15], s[24:25]
	s_delay_alu instid0(SALU_CYCLE_1) | instskip(NEXT) | instid1(VALU_DEP_1)
	s_xor_b64 s[28:29], s[28:29], s[24:25]
	v_mov_b32_e32 v11, v10
	s_cvt_f32_u32 s0, s28
	s_cvt_f32_u32 s2, s29
	s_sub_nc_u64 s[34:35], 0, s[28:29]
	s_delay_alu instid0(VALU_DEP_1) | instskip(NEXT) | instid1(SALU_CYCLE_1)
	v_add_nc_u64_e32 v[12:13], v[8:9], v[10:11]
	s_fmamk_f32 s0, s2, 0x4f800000, s0
	v_mov_b32_e32 v21, v2
	s_delay_alu instid0(SALU_CYCLE_2) | instskip(NEXT) | instid1(VALU_DEP_2)
	v_s_rcp_f32 s0, s0
	v_xor_b32_e32 v16, v12, v10
	s_delay_alu instid0(VALU_DEP_3) | instskip(NEXT) | instid1(TRANS32_DEP_1)
	v_dual_mov_b32 v25, v2 :: v_dual_bitop2_b32 v20, v13, v10 bitop3:0x14
	s_mul_f32 s0, s0, 0x5f7ffffc
	s_delay_alu instid0(SALU_CYCLE_3) | instskip(NEXT) | instid1(SALU_CYCLE_3)
	s_mul_f32 s2, s0, 0x2f800000
	s_trunc_f32 s2, s2
	s_delay_alu instid0(SALU_CYCLE_3) | instskip(SKIP_1) | instid1(SALU_CYCLE_2)
	s_fmamk_f32 s0, s2, 0xcf800000, s0
	s_cvt_u32_f32 s31, s2
	s_cvt_u32_f32 s30, s0
	s_delay_alu instid0(SALU_CYCLE_3) | instskip(NEXT) | instid1(SALU_CYCLE_1)
	s_mul_u64 s[36:37], s[34:35], s[30:31]
	s_mul_hi_u32 s39, s30, s37
	s_mul_i32 s38, s30, s37
	s_mul_hi_u32 s2, s30, s36
	s_mul_i32 s25, s31, s36
	s_add_nc_u64 s[38:39], s[2:3], s[38:39]
	s_mul_hi_u32 s0, s31, s36
	s_mul_hi_u32 s33, s31, s37
	s_add_co_u32 s2, s38, s25
	s_add_co_ci_u32 s2, s39, s0
	s_mul_i32 s36, s31, s37
	s_add_co_ci_u32 s37, s33, 0
	s_delay_alu instid0(SALU_CYCLE_1) | instskip(NEXT) | instid1(SALU_CYCLE_1)
	s_add_nc_u64 s[36:37], s[2:3], s[36:37]
	s_add_co_u32 s30, s30, s36
	s_cselect_b32 s0, -1, 0
	s_delay_alu instid0(SALU_CYCLE_1) | instskip(SKIP_1) | instid1(SALU_CYCLE_1)
	s_cmp_lg_u32 s0, 0
	s_add_co_ci_u32 s31, s31, s37
	s_mul_u64 s[34:35], s[34:35], s[30:31]
	s_delay_alu instid0(SALU_CYCLE_1)
	s_mul_hi_u32 s37, s30, s35
	s_mul_i32 s36, s30, s35
	s_mul_hi_u32 s2, s30, s34
	s_mul_i32 s25, s31, s34
	s_add_nc_u64 s[36:37], s[2:3], s[36:37]
	s_mul_hi_u32 s0, s31, s34
	s_mul_hi_u32 s33, s31, s35
	s_add_co_u32 s2, s36, s25
	s_add_co_ci_u32 s2, s37, s0
	s_mul_i32 s34, s31, s35
	s_add_co_ci_u32 s35, s33, 0
	s_delay_alu instid0(SALU_CYCLE_1) | instskip(NEXT) | instid1(SALU_CYCLE_1)
	s_add_nc_u64 s[34:35], s[2:3], s[34:35]
	s_add_co_u32 s0, s30, s34
	s_cselect_b32 s2, -1, 0
	v_mul_hi_u32 v24, v16, s0
	s_cmp_lg_u32 s2, 0
	s_add_co_ci_u32 s2, s31, s35
	s_and_b64 s[30:31], s[0:1], s[6:7]
	v_mul_u64_e32 v[18:19], s[2:3], v[16:17]
	v_mul_u64_e32 v[12:13], s[30:31], v[20:21]
	v_mul_u64_e32 v[22:23], s[2:3], v[20:21]
	s_delay_alu instid0(VALU_DEP_3) | instskip(NEXT) | instid1(VALU_DEP_1)
	v_add_nc_u64_e32 v[18:19], v[24:25], v[18:19]
	v_add_co_u32 v3, vcc_lo, v18, v12
	s_delay_alu instid0(VALU_DEP_2) | instskip(NEXT) | instid1(VALU_DEP_4)
	v_add_co_ci_u32_e32 v24, vcc_lo, v19, v13, vcc_lo
	v_add_co_ci_u32_e32 v23, vcc_lo, 0, v23, vcc_lo
	s_delay_alu instid0(VALU_DEP_1) | instskip(NEXT) | instid1(VALU_DEP_1)
	v_add_nc_u64_e32 v[12:13], v[24:25], v[22:23]
	v_mul_u64_e32 v[18:19], s[28:29], v[12:13]
	s_delay_alu instid0(VALU_DEP_1) | instskip(NEXT) | instid1(VALU_DEP_2)
	v_sub_nc_u32_e32 v3, v20, v19
	v_sub_co_u32 v11, vcc_lo, v16, v18
	s_delay_alu instid0(VALU_DEP_1) | instskip(NEXT) | instid1(VALU_DEP_3)
	v_sub_co_ci_u32_e64 v20, null, v20, v19, vcc_lo
	v_subrev_co_ci_u32_e64 v3, null, s29, v3, vcc_lo
	s_delay_alu instid0(VALU_DEP_3) | instskip(SKIP_1) | instid1(VALU_DEP_3)
	v_sub_co_u32 v15, s0, v11, s28
	v_add_nc_u64_e32 v[18:19], 1, v[12:13]
	v_subrev_co_ci_u32_e64 v3, null, 0, v3, s0
	s_delay_alu instid0(VALU_DEP_3) | instskip(SKIP_1) | instid1(VALU_DEP_3)
	v_cmp_le_u32_e32 vcc_lo, s28, v15
	v_cndmask_b32_e64 v15, 0, -1, vcc_lo
	v_cmp_le_u32_e32 vcc_lo, s29, v3
	v_cndmask_b32_e64 v16, 0, -1, vcc_lo
	v_cmp_le_u32_e32 vcc_lo, s28, v11
	v_cndmask_b32_e64 v11, 0, -1, vcc_lo
	v_cmp_le_u32_e32 vcc_lo, s29, v20
	v_cndmask_b32_e64 v21, 0, -1, vcc_lo
	v_cmp_eq_u32_e32 vcc_lo, s29, v3
	v_cndmask_b32_e32 v3, v16, v15, vcc_lo
	v_cmp_eq_u32_e32 vcc_lo, s29, v20
	v_add_nc_u64_e32 v[16:17], 2, v[12:13]
	v_cndmask_b32_e32 v11, v21, v11, vcc_lo
	s_delay_alu instid0(VALU_DEP_4) | instskip(NEXT) | instid1(VALU_DEP_3)
	v_cmp_ne_u32_e32 vcc_lo, 0, v3
	v_cndmask_b32_e32 v3, v19, v17, vcc_lo
	s_delay_alu instid0(VALU_DEP_3) | instskip(SKIP_1) | instid1(VALU_DEP_2)
	v_cmp_ne_u32_e64 s0, 0, v11
	v_dual_cndmask_b32 v11, v18, v16, vcc_lo :: v_dual_bitop2_b32 v10, s24, v10 bitop3:0x14
	v_cndmask_b32_e64 v3, v13, v3, s0
	s_delay_alu instid0(VALU_DEP_2) | instskip(NEXT) | instid1(VALU_DEP_2)
	v_dual_cndmask_b32 v12, v12, v11, s0 :: v_dual_mov_b32 v11, v10
	v_xor_b32_e32 v13, v3, v10
	s_delay_alu instid0(VALU_DEP_2) | instskip(NEXT) | instid1(VALU_DEP_1)
	v_xor_b32_e32 v12, v12, v10
	v_sub_nc_u64_e32 v[12:13], v[12:13], v[10:11]
.LBB18_5:                               ;   in Loop: Header=BB18_3 Depth=1
	s_and_not1_saveexec_b32 s0, s27
	s_cbranch_execz .LBB18_7
; %bb.6:                                ;   in Loop: Header=BB18_3 Depth=1
	v_mul_hi_u32 v3, v7, v14
	v_mov_b32_e32 v13, v2
	s_delay_alu instid0(VALU_DEP_2) | instskip(NEXT) | instid1(VALU_DEP_1)
	v_mul_lo_u32 v10, v3, s14
	v_dual_add_nc_u32 v11, 1, v3 :: v_dual_sub_nc_u32 v10, v7, v10
	s_delay_alu instid0(VALU_DEP_1) | instskip(SKIP_1) | instid1(VALU_DEP_2)
	v_subrev_nc_u32_e32 v12, s14, v10
	v_cmp_le_u32_e32 vcc_lo, s14, v10
	v_dual_cndmask_b32 v10, v10, v12 :: v_dual_cndmask_b32 v3, v3, v11
	s_delay_alu instid0(VALU_DEP_1) | instskip(NEXT) | instid1(VALU_DEP_2)
	v_cmp_le_u32_e32 vcc_lo, s14, v10
	v_add_nc_u32_e32 v11, 1, v3
	s_delay_alu instid0(VALU_DEP_1)
	v_cndmask_b32_e32 v12, v3, v11, vcc_lo
.LBB18_7:                               ;   in Loop: Header=BB18_3 Depth=1
	s_or_b32 exec_lo, exec_lo, s0
	s_delay_alu instid0(VALU_DEP_1) | instskip(SKIP_1) | instid1(VALU_DEP_1)
	v_or_b32_e32 v3, s13, v13
                                        ; implicit-def: $vgpr10_vgpr11
	s_mov_b32 s0, exec_lo
	v_cmpx_ne_u64_e32 0, v[2:3]
	s_xor_b32 s25, exec_lo, s0
	s_cbranch_execz .LBB18_9
; %bb.8:                                ;   in Loop: Header=BB18_3 Depth=1
	s_mov_b32 s27, s26
	v_dual_mov_b32 v17, v2 :: v_dual_ashrrev_i32 v10, 31, v13
	s_add_nc_u64 s[28:29], s[12:13], s[26:27]
	s_delay_alu instid0(SALU_CYCLE_1) | instskip(NEXT) | instid1(VALU_DEP_1)
	s_xor_b64 s[28:29], s[28:29], s[26:27]
	v_mov_b32_e32 v11, v10
	s_cvt_f32_u32 s0, s28
	s_cvt_f32_u32 s2, s29
	s_sub_nc_u64 s[34:35], 0, s[28:29]
	s_delay_alu instid0(VALU_DEP_1) | instskip(NEXT) | instid1(SALU_CYCLE_1)
	v_add_nc_u64_e32 v[12:13], v[12:13], v[10:11]
	s_fmamk_f32 s0, s2, 0x4f800000, s0
	v_mov_b32_e32 v21, v2
	s_delay_alu instid0(SALU_CYCLE_2) | instskip(NEXT) | instid1(VALU_DEP_2)
	v_s_rcp_f32 s0, s0
	v_xor_b32_e32 v16, v12, v10
	s_delay_alu instid0(VALU_DEP_3) | instskip(NEXT) | instid1(TRANS32_DEP_1)
	v_dual_mov_b32 v25, v2 :: v_dual_bitop2_b32 v20, v13, v10 bitop3:0x14
	s_mul_f32 s0, s0, 0x5f7ffffc
	s_delay_alu instid0(SALU_CYCLE_3) | instskip(NEXT) | instid1(SALU_CYCLE_3)
	s_mul_f32 s2, s0, 0x2f800000
	s_trunc_f32 s2, s2
	s_delay_alu instid0(SALU_CYCLE_3) | instskip(SKIP_1) | instid1(SALU_CYCLE_2)
	s_fmamk_f32 s0, s2, 0xcf800000, s0
	s_cvt_u32_f32 s31, s2
	s_cvt_u32_f32 s30, s0
	s_delay_alu instid0(SALU_CYCLE_3) | instskip(NEXT) | instid1(SALU_CYCLE_1)
	s_mul_u64 s[36:37], s[34:35], s[30:31]
	s_mul_hi_u32 s39, s30, s37
	s_mul_i32 s38, s30, s37
	s_mul_hi_u32 s2, s30, s36
	s_mul_i32 s27, s31, s36
	s_add_nc_u64 s[38:39], s[2:3], s[38:39]
	s_mul_hi_u32 s0, s31, s36
	s_mul_hi_u32 s33, s31, s37
	s_add_co_u32 s2, s38, s27
	s_add_co_ci_u32 s2, s39, s0
	s_mul_i32 s36, s31, s37
	s_add_co_ci_u32 s37, s33, 0
	s_delay_alu instid0(SALU_CYCLE_1) | instskip(NEXT) | instid1(SALU_CYCLE_1)
	s_add_nc_u64 s[36:37], s[2:3], s[36:37]
	s_add_co_u32 s30, s30, s36
	s_cselect_b32 s0, -1, 0
	s_delay_alu instid0(SALU_CYCLE_1) | instskip(SKIP_1) | instid1(SALU_CYCLE_1)
	s_cmp_lg_u32 s0, 0
	s_add_co_ci_u32 s31, s31, s37
	s_mul_u64 s[34:35], s[34:35], s[30:31]
	s_delay_alu instid0(SALU_CYCLE_1)
	s_mul_hi_u32 s37, s30, s35
	s_mul_i32 s36, s30, s35
	s_mul_hi_u32 s2, s30, s34
	s_mul_i32 s27, s31, s34
	s_add_nc_u64 s[36:37], s[2:3], s[36:37]
	s_mul_hi_u32 s0, s31, s34
	s_mul_hi_u32 s33, s31, s35
	s_add_co_u32 s2, s36, s27
	s_add_co_ci_u32 s2, s37, s0
	s_mul_i32 s34, s31, s35
	s_add_co_ci_u32 s35, s33, 0
	s_delay_alu instid0(SALU_CYCLE_1) | instskip(NEXT) | instid1(SALU_CYCLE_1)
	s_add_nc_u64 s[34:35], s[2:3], s[34:35]
	s_add_co_u32 s0, s30, s34
	s_cselect_b32 s2, -1, 0
	v_mul_hi_u32 v24, v16, s0
	s_cmp_lg_u32 s2, 0
	s_add_co_ci_u32 s2, s31, s35
	s_and_b64 s[30:31], s[0:1], s[6:7]
	v_mul_u64_e32 v[18:19], s[2:3], v[16:17]
	v_mul_u64_e32 v[12:13], s[30:31], v[20:21]
	;; [unrolled: 1-line block ×3, first 2 shown]
	s_delay_alu instid0(VALU_DEP_3) | instskip(NEXT) | instid1(VALU_DEP_1)
	v_add_nc_u64_e32 v[18:19], v[24:25], v[18:19]
	v_add_co_u32 v3, vcc_lo, v18, v12
	s_delay_alu instid0(VALU_DEP_2) | instskip(NEXT) | instid1(VALU_DEP_4)
	v_add_co_ci_u32_e32 v24, vcc_lo, v19, v13, vcc_lo
	v_add_co_ci_u32_e32 v23, vcc_lo, 0, v23, vcc_lo
	s_delay_alu instid0(VALU_DEP_1) | instskip(NEXT) | instid1(VALU_DEP_1)
	v_add_nc_u64_e32 v[12:13], v[24:25], v[22:23]
	v_mul_u64_e32 v[18:19], s[28:29], v[12:13]
	s_delay_alu instid0(VALU_DEP_1) | instskip(NEXT) | instid1(VALU_DEP_2)
	v_sub_nc_u32_e32 v3, v20, v19
	v_sub_co_u32 v11, vcc_lo, v16, v18
	s_delay_alu instid0(VALU_DEP_1) | instskip(NEXT) | instid1(VALU_DEP_3)
	v_sub_co_ci_u32_e64 v20, null, v20, v19, vcc_lo
	v_subrev_co_ci_u32_e64 v3, null, s29, v3, vcc_lo
	s_delay_alu instid0(VALU_DEP_3) | instskip(SKIP_1) | instid1(VALU_DEP_3)
	v_sub_co_u32 v15, s0, v11, s28
	v_add_nc_u64_e32 v[18:19], 1, v[12:13]
	v_subrev_co_ci_u32_e64 v3, null, 0, v3, s0
	s_delay_alu instid0(VALU_DEP_3) | instskip(SKIP_1) | instid1(VALU_DEP_3)
	v_cmp_le_u32_e32 vcc_lo, s28, v15
	v_cndmask_b32_e64 v15, 0, -1, vcc_lo
	v_cmp_le_u32_e32 vcc_lo, s29, v3
	v_cndmask_b32_e64 v16, 0, -1, vcc_lo
	;; [unrolled: 2-line block ×4, first 2 shown]
	v_cmp_eq_u32_e32 vcc_lo, s29, v3
	v_cndmask_b32_e32 v3, v16, v15, vcc_lo
	v_cmp_eq_u32_e32 vcc_lo, s29, v20
	v_add_nc_u64_e32 v[16:17], 2, v[12:13]
	v_cndmask_b32_e32 v11, v21, v11, vcc_lo
	s_delay_alu instid0(VALU_DEP_4) | instskip(NEXT) | instid1(VALU_DEP_3)
	v_cmp_ne_u32_e32 vcc_lo, 0, v3
	v_cndmask_b32_e32 v3, v19, v17, vcc_lo
	s_delay_alu instid0(VALU_DEP_3) | instskip(SKIP_1) | instid1(VALU_DEP_2)
	v_cmp_ne_u32_e64 s0, 0, v11
	v_dual_cndmask_b32 v11, v18, v16, vcc_lo :: v_dual_bitop2_b32 v10, s26, v10 bitop3:0x14
	v_cndmask_b32_e64 v3, v13, v3, s0
	s_delay_alu instid0(VALU_DEP_2) | instskip(NEXT) | instid1(VALU_DEP_2)
	v_dual_cndmask_b32 v12, v12, v11, s0 :: v_dual_mov_b32 v11, v10
	v_xor_b32_e32 v13, v3, v10
	s_delay_alu instid0(VALU_DEP_2) | instskip(NEXT) | instid1(VALU_DEP_1)
	v_xor_b32_e32 v12, v12, v10
	v_sub_nc_u64_e32 v[10:11], v[12:13], v[10:11]
                                        ; implicit-def: $vgpr12_vgpr13
.LBB18_9:                               ;   in Loop: Header=BB18_3 Depth=1
	s_and_not1_saveexec_b32 s0, s25
	s_cbranch_execz .LBB18_11
; %bb.10:                               ;   in Loop: Header=BB18_3 Depth=1
	v_cvt_f32_u32_e32 v3, s12
	s_sub_co_i32 s2, 0, s12
	s_delay_alu instid0(VALU_DEP_1) | instskip(SKIP_1) | instid1(TRANS32_DEP_1)
	v_rcp_iflag_f32_e32 v3, v3
	v_nop
	v_mul_f32_e32 v3, 0x4f7ffffe, v3
	s_delay_alu instid0(VALU_DEP_1) | instskip(NEXT) | instid1(VALU_DEP_1)
	v_cvt_u32_f32_e32 v3, v3
	v_mul_lo_u32 v10, s2, v3
	s_delay_alu instid0(VALU_DEP_1) | instskip(NEXT) | instid1(VALU_DEP_1)
	v_mul_hi_u32 v10, v3, v10
	v_add_nc_u32_e32 v3, v3, v10
	s_delay_alu instid0(VALU_DEP_1) | instskip(NEXT) | instid1(VALU_DEP_1)
	v_mul_hi_u32 v3, v12, v3
	v_mul_lo_u32 v10, v3, s12
	s_delay_alu instid0(VALU_DEP_1) | instskip(NEXT) | instid1(VALU_DEP_1)
	v_dual_add_nc_u32 v11, 1, v3 :: v_dual_sub_nc_u32 v10, v12, v10
	v_subrev_nc_u32_e32 v12, s12, v10
	v_cmp_le_u32_e32 vcc_lo, s12, v10
	s_delay_alu instid0(VALU_DEP_2) | instskip(NEXT) | instid1(VALU_DEP_1)
	v_dual_cndmask_b32 v10, v10, v12 :: v_dual_cndmask_b32 v3, v3, v11
	v_cmp_le_u32_e32 vcc_lo, s12, v10
	s_delay_alu instid0(VALU_DEP_2) | instskip(NEXT) | instid1(VALU_DEP_1)
	v_add_nc_u32_e32 v11, 1, v3
	v_dual_cndmask_b32 v10, v3, v11 :: v_dual_mov_b32 v11, v2
.LBB18_11:                              ;   in Loop: Header=BB18_3 Depth=1
	s_or_b32 exec_lo, exec_lo, s0
	s_delay_alu instid0(VALU_DEP_1) | instskip(SKIP_1) | instid1(VALU_DEP_1)
	v_or_b32_e32 v3, s11, v11
                                        ; implicit-def: $vgpr12_vgpr13
	s_mov_b32 s0, exec_lo
	v_cmpx_ne_u64_e32 0, v[2:3]
	s_xor_b32 s25, exec_lo, s0
	s_cbranch_execz .LBB18_13
; %bb.12:                               ;   in Loop: Header=BB18_3 Depth=1
	s_ashr_i32 s28, s11, 31
	v_dual_mov_b32 v19, v2 :: v_dual_ashrrev_i32 v12, 31, v11
	s_mov_b32 s29, s28
	v_mov_b32_e32 v23, v2
	s_add_nc_u64 s[30:31], s[10:11], s[28:29]
	s_delay_alu instid0(VALU_DEP_2)
	v_mov_b32_e32 v13, v12
	s_xor_b64 s[30:31], s[30:31], s[28:29]
	v_mov_b32_e32 v27, v2
	s_cvt_f32_u32 s0, s30
	s_cvt_f32_u32 s2, s31
	s_sub_nc_u64 s[36:37], 0, s[30:31]
	v_add_nc_u64_e32 v[16:17], v[10:11], v[12:13]
	s_delay_alu instid0(SALU_CYCLE_1) | instskip(NEXT) | instid1(SALU_CYCLE_3)
	s_fmamk_f32 s0, s2, 0x4f800000, s0
	v_s_rcp_f32 s0, s0
	s_delay_alu instid0(VALU_DEP_1) | instskip(NEXT) | instid1(VALU_DEP_2)
	v_xor_b32_e32 v18, v16, v12
	v_xor_b32_e32 v22, v17, v12
	s_delay_alu instid0(TRANS32_DEP_1) | instskip(NEXT) | instid1(SALU_CYCLE_3)
	s_mul_f32 s0, s0, 0x5f7ffffc
	s_mul_f32 s2, s0, 0x2f800000
	s_delay_alu instid0(SALU_CYCLE_3) | instskip(NEXT) | instid1(SALU_CYCLE_3)
	s_trunc_f32 s2, s2
	s_fmamk_f32 s0, s2, 0xcf800000, s0
	s_cvt_u32_f32 s35, s2
	s_delay_alu instid0(SALU_CYCLE_2) | instskip(NEXT) | instid1(SALU_CYCLE_3)
	s_cvt_u32_f32 s34, s0
	s_mul_u64 s[38:39], s[36:37], s[34:35]
	s_delay_alu instid0(SALU_CYCLE_1)
	s_mul_hi_u32 s41, s34, s39
	s_mul_i32 s40, s34, s39
	s_mul_hi_u32 s2, s34, s38
	s_mul_i32 s27, s35, s38
	s_add_nc_u64 s[40:41], s[2:3], s[40:41]
	s_mul_hi_u32 s0, s35, s38
	s_mul_hi_u32 s29, s35, s39
	s_add_co_u32 s2, s40, s27
	s_add_co_ci_u32 s2, s41, s0
	s_mul_i32 s38, s35, s39
	s_add_co_ci_u32 s39, s29, 0
	s_delay_alu instid0(SALU_CYCLE_1) | instskip(NEXT) | instid1(SALU_CYCLE_1)
	s_add_nc_u64 s[38:39], s[2:3], s[38:39]
	s_add_co_u32 s34, s34, s38
	s_cselect_b32 s0, -1, 0
	s_delay_alu instid0(SALU_CYCLE_1) | instskip(SKIP_1) | instid1(SALU_CYCLE_1)
	s_cmp_lg_u32 s0, 0
	s_add_co_ci_u32 s35, s35, s39
	s_mul_u64 s[36:37], s[36:37], s[34:35]
	s_delay_alu instid0(SALU_CYCLE_1)
	s_mul_hi_u32 s39, s34, s37
	s_mul_i32 s38, s34, s37
	s_mul_hi_u32 s2, s34, s36
	s_mul_i32 s27, s35, s36
	s_add_nc_u64 s[38:39], s[2:3], s[38:39]
	s_mul_hi_u32 s0, s35, s36
	s_mul_hi_u32 s29, s35, s37
	s_add_co_u32 s2, s38, s27
	s_add_co_ci_u32 s2, s39, s0
	s_mul_i32 s36, s35, s37
	s_add_co_ci_u32 s37, s29, 0
	s_delay_alu instid0(SALU_CYCLE_1) | instskip(NEXT) | instid1(SALU_CYCLE_1)
	s_add_nc_u64 s[36:37], s[2:3], s[36:37]
	s_add_co_u32 s0, s34, s36
	s_cselect_b32 s2, -1, 0
	v_mul_hi_u32 v26, v18, s0
	s_cmp_lg_u32 s2, 0
	s_add_co_ci_u32 s2, s35, s37
	s_and_b64 s[34:35], s[0:1], s[6:7]
	v_mul_u64_e32 v[20:21], s[2:3], v[18:19]
	v_mul_u64_e32 v[16:17], s[34:35], v[22:23]
	;; [unrolled: 1-line block ×3, first 2 shown]
	s_delay_alu instid0(VALU_DEP_3) | instskip(NEXT) | instid1(VALU_DEP_1)
	v_add_nc_u64_e32 v[20:21], v[26:27], v[20:21]
	v_add_co_u32 v3, vcc_lo, v20, v16
	s_delay_alu instid0(VALU_DEP_2) | instskip(NEXT) | instid1(VALU_DEP_4)
	v_add_co_ci_u32_e32 v26, vcc_lo, v21, v17, vcc_lo
	v_add_co_ci_u32_e32 v25, vcc_lo, 0, v25, vcc_lo
	s_delay_alu instid0(VALU_DEP_1) | instskip(NEXT) | instid1(VALU_DEP_1)
	v_add_nc_u64_e32 v[16:17], v[26:27], v[24:25]
	v_mul_u64_e32 v[20:21], s[30:31], v[16:17]
	s_delay_alu instid0(VALU_DEP_1) | instskip(NEXT) | instid1(VALU_DEP_2)
	v_sub_nc_u32_e32 v3, v22, v21
	v_sub_co_u32 v11, vcc_lo, v18, v20
	s_delay_alu instid0(VALU_DEP_1) | instskip(NEXT) | instid1(VALU_DEP_3)
	v_sub_co_ci_u32_e64 v15, null, v22, v21, vcc_lo
	v_subrev_co_ci_u32_e64 v3, null, s31, v3, vcc_lo
	s_delay_alu instid0(VALU_DEP_3) | instskip(SKIP_1) | instid1(VALU_DEP_3)
	v_sub_co_u32 v13, s0, v11, s30
	v_add_nc_u64_e32 v[20:21], 1, v[16:17]
	v_subrev_co_ci_u32_e64 v3, null, 0, v3, s0
	s_delay_alu instid0(VALU_DEP_3) | instskip(SKIP_1) | instid1(VALU_DEP_3)
	v_cmp_le_u32_e32 vcc_lo, s30, v13
	v_cndmask_b32_e64 v13, 0, -1, vcc_lo
	v_cmp_le_u32_e32 vcc_lo, s31, v3
	v_cndmask_b32_e64 v18, 0, -1, vcc_lo
	;; [unrolled: 2-line block ×4, first 2 shown]
	v_cmp_eq_u32_e32 vcc_lo, s31, v3
	v_cndmask_b32_e32 v3, v18, v13, vcc_lo
	v_cmp_eq_u32_e32 vcc_lo, s31, v15
	v_add_nc_u64_e32 v[18:19], 2, v[16:17]
	v_cndmask_b32_e32 v11, v22, v11, vcc_lo
	s_delay_alu instid0(VALU_DEP_4) | instskip(NEXT) | instid1(VALU_DEP_2)
	v_cmp_ne_u32_e32 vcc_lo, 0, v3
	v_cmp_ne_u32_e64 s0, 0, v11
	s_delay_alu instid0(VALU_DEP_4) | instskip(NEXT) | instid1(VALU_DEP_1)
	v_dual_cndmask_b32 v3, v21, v19, vcc_lo :: v_dual_cndmask_b32 v11, v20, v18, vcc_lo
	v_dual_cndmask_b32 v3, v17, v3, s0 :: v_dual_bitop2_b32 v12, s28, v12 bitop3:0x14
	s_delay_alu instid0(VALU_DEP_1) | instskip(NEXT) | instid1(VALU_DEP_1)
	v_dual_cndmask_b32 v11, v16, v11, s0 :: v_dual_bitop2_b32 v17, v3, v12 bitop3:0x14
	v_dual_mov_b32 v13, v12 :: v_dual_bitop2_b32 v16, v11, v12 bitop3:0x14
	s_delay_alu instid0(VALU_DEP_1)
	v_sub_nc_u64_e32 v[12:13], v[16:17], v[12:13]
.LBB18_13:                              ;   in Loop: Header=BB18_3 Depth=1
	s_and_not1_saveexec_b32 s0, s25
	s_cbranch_execz .LBB18_2
; %bb.14:                               ;   in Loop: Header=BB18_3 Depth=1
	v_cvt_f32_u32_e32 v3, s10
	s_sub_co_i32 s2, 0, s10
	s_delay_alu instid0(VALU_DEP_1) | instskip(SKIP_1) | instid1(TRANS32_DEP_1)
	v_rcp_iflag_f32_e32 v3, v3
	v_nop
	v_mul_f32_e32 v3, 0x4f7ffffe, v3
	s_delay_alu instid0(VALU_DEP_1) | instskip(NEXT) | instid1(VALU_DEP_1)
	v_cvt_u32_f32_e32 v3, v3
	v_mul_lo_u32 v11, s2, v3
	s_delay_alu instid0(VALU_DEP_1) | instskip(NEXT) | instid1(VALU_DEP_1)
	v_mul_hi_u32 v11, v3, v11
	v_add_nc_u32_e32 v3, v3, v11
	s_delay_alu instid0(VALU_DEP_1) | instskip(NEXT) | instid1(VALU_DEP_1)
	v_mul_hi_u32 v3, v10, v3
	v_mul_lo_u32 v11, v3, s10
	s_delay_alu instid0(VALU_DEP_1) | instskip(NEXT) | instid1(VALU_DEP_1)
	v_sub_nc_u32_e32 v11, v10, v11
	v_subrev_nc_u32_e32 v13, s10, v11
	v_cmp_le_u32_e32 vcc_lo, s10, v11
	s_delay_alu instid0(VALU_DEP_2) | instskip(NEXT) | instid1(VALU_DEP_1)
	v_dual_cndmask_b32 v11, v11, v13 :: v_dual_add_nc_u32 v12, 1, v3
	v_cndmask_b32_e32 v3, v3, v12, vcc_lo
	s_delay_alu instid0(VALU_DEP_2) | instskip(NEXT) | instid1(VALU_DEP_2)
	v_cmp_le_u32_e32 vcc_lo, s10, v11
	v_add_nc_u32_e32 v12, 1, v3
	s_delay_alu instid0(VALU_DEP_1)
	v_cndmask_b32_e32 v12, v3, v12, vcc_lo
	s_branch .LBB18_2
.LBB18_15:
	s_endpgm
	.section	.rodata,"a",@progbits
	.p2align	6, 0x0
	.amdhsa_kernel _ZN2at6native31max_unpooling2d_backward_kernelIhEEvlPKT_PKllllllPS2_
		.amdhsa_group_segment_fixed_size 0
		.amdhsa_private_segment_fixed_size 0
		.amdhsa_kernarg_size 328
		.amdhsa_user_sgpr_count 2
		.amdhsa_user_sgpr_dispatch_ptr 0
		.amdhsa_user_sgpr_queue_ptr 0
		.amdhsa_user_sgpr_kernarg_segment_ptr 1
		.amdhsa_user_sgpr_dispatch_id 0
		.amdhsa_user_sgpr_kernarg_preload_length 0
		.amdhsa_user_sgpr_kernarg_preload_offset 0
		.amdhsa_user_sgpr_private_segment_size 0
		.amdhsa_wavefront_size32 1
		.amdhsa_uses_dynamic_stack 0
		.amdhsa_enable_private_segment 0
		.amdhsa_system_sgpr_workgroup_id_x 1
		.amdhsa_system_sgpr_workgroup_id_y 0
		.amdhsa_system_sgpr_workgroup_id_z 0
		.amdhsa_system_sgpr_workgroup_info 0
		.amdhsa_system_vgpr_workitem_id 0
		.amdhsa_next_free_vgpr 28
		.amdhsa_next_free_sgpr 42
		.amdhsa_named_barrier_count 0
		.amdhsa_reserve_vcc 1
		.amdhsa_float_round_mode_32 0
		.amdhsa_float_round_mode_16_64 0
		.amdhsa_float_denorm_mode_32 3
		.amdhsa_float_denorm_mode_16_64 3
		.amdhsa_fp16_overflow 0
		.amdhsa_memory_ordered 1
		.amdhsa_forward_progress 1
		.amdhsa_inst_pref_size 21
		.amdhsa_round_robin_scheduling 0
		.amdhsa_exception_fp_ieee_invalid_op 0
		.amdhsa_exception_fp_denorm_src 0
		.amdhsa_exception_fp_ieee_div_zero 0
		.amdhsa_exception_fp_ieee_overflow 0
		.amdhsa_exception_fp_ieee_underflow 0
		.amdhsa_exception_fp_ieee_inexact 0
		.amdhsa_exception_int_div_zero 0
	.end_amdhsa_kernel
	.section	.text._ZN2at6native31max_unpooling2d_backward_kernelIhEEvlPKT_PKllllllPS2_,"axG",@progbits,_ZN2at6native31max_unpooling2d_backward_kernelIhEEvlPKT_PKllllllPS2_,comdat
.Lfunc_end18:
	.size	_ZN2at6native31max_unpooling2d_backward_kernelIhEEvlPKT_PKllllllPS2_, .Lfunc_end18-_ZN2at6native31max_unpooling2d_backward_kernelIhEEvlPKT_PKllllllPS2_
                                        ; -- End function
	.set _ZN2at6native31max_unpooling2d_backward_kernelIhEEvlPKT_PKllllllPS2_.num_vgpr, 28
	.set _ZN2at6native31max_unpooling2d_backward_kernelIhEEvlPKT_PKllllllPS2_.num_agpr, 0
	.set _ZN2at6native31max_unpooling2d_backward_kernelIhEEvlPKT_PKllllllPS2_.numbered_sgpr, 42
	.set _ZN2at6native31max_unpooling2d_backward_kernelIhEEvlPKT_PKllllllPS2_.num_named_barrier, 0
	.set _ZN2at6native31max_unpooling2d_backward_kernelIhEEvlPKT_PKllllllPS2_.private_seg_size, 0
	.set _ZN2at6native31max_unpooling2d_backward_kernelIhEEvlPKT_PKllllllPS2_.uses_vcc, 1
	.set _ZN2at6native31max_unpooling2d_backward_kernelIhEEvlPKT_PKllllllPS2_.uses_flat_scratch, 0
	.set _ZN2at6native31max_unpooling2d_backward_kernelIhEEvlPKT_PKllllllPS2_.has_dyn_sized_stack, 0
	.set _ZN2at6native31max_unpooling2d_backward_kernelIhEEvlPKT_PKllllllPS2_.has_recursion, 0
	.set _ZN2at6native31max_unpooling2d_backward_kernelIhEEvlPKT_PKllllllPS2_.has_indirect_call, 0
	.section	.AMDGPU.csdata,"",@progbits
; Kernel info:
; codeLenInByte = 2616
; TotalNumSgprs: 44
; NumVgprs: 28
; ScratchSize: 0
; MemoryBound: 0
; FloatMode: 240
; IeeeMode: 1
; LDSByteSize: 0 bytes/workgroup (compile time only)
; SGPRBlocks: 0
; VGPRBlocks: 1
; NumSGPRsForWavesPerEU: 44
; NumVGPRsForWavesPerEU: 28
; NamedBarCnt: 0
; Occupancy: 16
; WaveLimiterHint : 1
; COMPUTE_PGM_RSRC2:SCRATCH_EN: 0
; COMPUTE_PGM_RSRC2:USER_SGPR: 2
; COMPUTE_PGM_RSRC2:TRAP_HANDLER: 0
; COMPUTE_PGM_RSRC2:TGID_X_EN: 1
; COMPUTE_PGM_RSRC2:TGID_Y_EN: 0
; COMPUTE_PGM_RSRC2:TGID_Z_EN: 0
; COMPUTE_PGM_RSRC2:TIDIG_COMP_CNT: 0
	.section	.text._ZN2at6native31max_unpooling2d_backward_kernelIaEEvlPKT_PKllllllPS2_,"axG",@progbits,_ZN2at6native31max_unpooling2d_backward_kernelIaEEvlPKT_PKllllllPS2_,comdat
	.protected	_ZN2at6native31max_unpooling2d_backward_kernelIaEEvlPKT_PKllllllPS2_ ; -- Begin function _ZN2at6native31max_unpooling2d_backward_kernelIaEEvlPKT_PKllllllPS2_
	.globl	_ZN2at6native31max_unpooling2d_backward_kernelIaEEvlPKT_PKllllllPS2_
	.p2align	8
	.type	_ZN2at6native31max_unpooling2d_backward_kernelIaEEvlPKT_PKllllllPS2_,@function
_ZN2at6native31max_unpooling2d_backward_kernelIaEEvlPKT_PKllllllPS2_: ; @_ZN2at6native31max_unpooling2d_backward_kernelIaEEvlPKT_PKllllllPS2_
; %bb.0:
	s_load_b32 s2, s[0:1], 0x54
	s_bfe_u32 s4, ttmp6, 0x4000c
	v_mov_b32_e32 v2, 0
	s_add_co_i32 s21, s4, 1
	s_load_b512 s[4:19], s[0:1], 0x0
	s_and_b32 s3, ttmp6, 15
	s_mul_i32 s21, ttmp9, s21
	s_getreg_b32 s20, hwreg(HW_REG_IB_STS2, 6, 4)
	v_mov_b32_e32 v1, v2
	s_add_co_i32 s3, s3, s21
	s_wait_kmcnt 0x0
	s_and_b32 s2, s2, 0xffff
	s_cmp_eq_u32 s20, 0
	s_mov_b32 s20, exec_lo
	s_cselect_b32 s3, ttmp9, s3
	s_delay_alu instid0(SALU_CYCLE_1) | instskip(SKIP_1) | instid1(VALU_DEP_1)
	v_mad_nc_u64_u32 v[0:1], s2, s3, v[0:1]
	s_mov_b32 s3, 0
	v_cmpx_gt_i64_e64 s[4:5], v[0:1]
	s_cbranch_execz .LBB19_15
; %bb.1:
	v_cvt_f32_u32_e32 v3, s14
	s_sub_co_i32 s22, 0, s14
	s_add_nc_u64 s[20:21], s[0:1], 0x48
	v_mov_b64_e32 v[4:5], s[6:7]
	s_load_b32 s23, s[20:21], 0x0
	v_rcp_iflag_f32_e32 v3, v3
	s_wait_xcnt 0x0
	s_load_b64 s[20:21], s[0:1], 0x40
	s_mul_u64 s[16:17], s[18:19], s[16:17]
	s_mov_b32 s19, s3
	s_mov_b64 s[6:7], 0xffffffff
	s_ashr_i32 s24, s15, 31
	s_ashr_i32 s26, s13, 31
	v_nop
	v_mul_f32_e32 v3, 0x4f7ffffe, v3
	s_wait_xcnt 0x0
	s_mov_b32 s1, 0
	s_delay_alu instid0(VALU_DEP_1) | instskip(NEXT) | instid1(VALU_DEP_1)
	v_cvt_u32_f32_e32 v6, v3
	v_mul_lo_u32 v3, s22, v6
	s_mov_b32 s22, s3
	s_wait_kmcnt 0x0
	s_mul_i32 s18, s23, s2
	s_delay_alu instid0(SALU_CYCLE_1) | instskip(NEXT) | instid1(VALU_DEP_1)
	s_mov_b32 s23, s18
	v_mul_hi_u32 v7, v6, v3
	s_delay_alu instid0(VALU_DEP_1) | instskip(NEXT) | instid1(VALU_DEP_1)
	v_dual_mov_b32 v3, v0 :: v_dual_add_nc_u32 v14, v6, v7
	v_mov_b64_e32 v[6:7], v[2:3]
	s_branch .LBB19_3
.LBB19_2:                               ;   in Loop: Header=BB19_3 Depth=1
	s_or_b32 exec_lo, exec_lo, s0
	v_lshl_add_u64 v[16:17], v[8:9], 3, s[8:9]
	s_delay_alu instid0(VALU_DEP_2)
	v_mul_lo_u32 v3, v12, s10
	v_add_nc_u64_e32 v[0:1], s[18:19], v[0:1]
	v_add_nc_u64_e32 v[8:9], s[20:21], v[8:9]
	;; [unrolled: 1-line block ×3, first 2 shown]
	global_load_b32 v16, v[16:17], off
	v_cmp_le_i64_e32 vcc_lo, s[4:5], v[0:1]
	v_dual_sub_nc_u32 v10, v10, v3 :: v_dual_ashrrev_i32 v3, 31, v12
	s_or_b32 s1, vcc_lo, s1
	s_wait_loadcnt 0x0
	s_wait_xcnt 0x0
	s_delay_alu instid0(VALU_DEP_1) | instskip(NEXT) | instid1(VALU_DEP_1)
	v_dual_ashrrev_i32 v11, 31, v10 :: v_dual_ashrrev_i32 v17, 31, v16
	v_mad_nc_u64_u32 v[10:11], v12, s10, v[10:11]
	s_delay_alu instid0(VALU_DEP_1) | instskip(NEXT) | instid1(VALU_DEP_2)
	v_mad_u32 v3, v3, s10, v11
	v_mad_nc_u64_u32 v[4:5], s16, v10, v[4:5]
	s_delay_alu instid0(VALU_DEP_2) | instskip(NEXT) | instid1(VALU_DEP_2)
	v_mad_u32 v3, v12, s11, v3
	v_mad_u32 v5, s17, v10, v5
	s_delay_alu instid0(VALU_DEP_1) | instskip(NEXT) | instid1(VALU_DEP_1)
	v_mad_u32 v5, s16, v3, v5
	v_add_nc_u64_e32 v[10:11], v[4:5], v[16:17]
	global_load_u8 v3, v[10:11], off
	s_wait_loadcnt 0x0
	global_store_b8 v[8:9], v3, off
	s_wait_xcnt 0x0
	s_and_not1_b32 exec_lo, exec_lo, s1
	s_cbranch_execz .LBB19_15
.LBB19_3:                               ; =>This Inner Loop Header: Depth=1
	s_delay_alu instid0(VALU_DEP_1) | instskip(SKIP_1) | instid1(VALU_DEP_1)
	v_dual_mov_b32 v8, v7 :: v_dual_ashrrev_i32 v9, 31, v7
                                        ; implicit-def: $vgpr12_vgpr13
	s_mov_b32 s0, exec_lo
	v_or_b32_e32 v3, s15, v9
	s_delay_alu instid0(VALU_DEP_1)
	v_cmpx_ne_u64_e32 0, v[2:3]
	s_xor_b32 s27, exec_lo, s0
	s_cbranch_execz .LBB19_5
; %bb.4:                                ;   in Loop: Header=BB19_3 Depth=1
	s_mov_b32 s25, s24
	v_dual_mov_b32 v17, v2 :: v_dual_ashrrev_i32 v10, 31, v9
	s_add_nc_u64 s[28:29], s[14:15], s[24:25]
	s_delay_alu instid0(SALU_CYCLE_1) | instskip(NEXT) | instid1(VALU_DEP_1)
	s_xor_b64 s[28:29], s[28:29], s[24:25]
	v_mov_b32_e32 v11, v10
	s_cvt_f32_u32 s0, s28
	s_cvt_f32_u32 s2, s29
	s_sub_nc_u64 s[34:35], 0, s[28:29]
	s_delay_alu instid0(VALU_DEP_1) | instskip(NEXT) | instid1(SALU_CYCLE_1)
	v_add_nc_u64_e32 v[12:13], v[8:9], v[10:11]
	s_fmamk_f32 s0, s2, 0x4f800000, s0
	v_mov_b32_e32 v21, v2
	s_delay_alu instid0(SALU_CYCLE_2) | instskip(NEXT) | instid1(VALU_DEP_2)
	v_s_rcp_f32 s0, s0
	v_xor_b32_e32 v16, v12, v10
	s_delay_alu instid0(VALU_DEP_3) | instskip(NEXT) | instid1(TRANS32_DEP_1)
	v_dual_mov_b32 v25, v2 :: v_dual_bitop2_b32 v20, v13, v10 bitop3:0x14
	s_mul_f32 s0, s0, 0x5f7ffffc
	s_delay_alu instid0(SALU_CYCLE_3) | instskip(NEXT) | instid1(SALU_CYCLE_3)
	s_mul_f32 s2, s0, 0x2f800000
	s_trunc_f32 s2, s2
	s_delay_alu instid0(SALU_CYCLE_3) | instskip(SKIP_1) | instid1(SALU_CYCLE_2)
	s_fmamk_f32 s0, s2, 0xcf800000, s0
	s_cvt_u32_f32 s31, s2
	s_cvt_u32_f32 s30, s0
	s_delay_alu instid0(SALU_CYCLE_3) | instskip(NEXT) | instid1(SALU_CYCLE_1)
	s_mul_u64 s[36:37], s[34:35], s[30:31]
	s_mul_hi_u32 s39, s30, s37
	s_mul_i32 s38, s30, s37
	s_mul_hi_u32 s2, s30, s36
	s_mul_i32 s25, s31, s36
	s_add_nc_u64 s[38:39], s[2:3], s[38:39]
	s_mul_hi_u32 s0, s31, s36
	s_mul_hi_u32 s33, s31, s37
	s_add_co_u32 s2, s38, s25
	s_add_co_ci_u32 s2, s39, s0
	s_mul_i32 s36, s31, s37
	s_add_co_ci_u32 s37, s33, 0
	s_delay_alu instid0(SALU_CYCLE_1) | instskip(NEXT) | instid1(SALU_CYCLE_1)
	s_add_nc_u64 s[36:37], s[2:3], s[36:37]
	s_add_co_u32 s30, s30, s36
	s_cselect_b32 s0, -1, 0
	s_delay_alu instid0(SALU_CYCLE_1) | instskip(SKIP_1) | instid1(SALU_CYCLE_1)
	s_cmp_lg_u32 s0, 0
	s_add_co_ci_u32 s31, s31, s37
	s_mul_u64 s[34:35], s[34:35], s[30:31]
	s_delay_alu instid0(SALU_CYCLE_1)
	s_mul_hi_u32 s37, s30, s35
	s_mul_i32 s36, s30, s35
	s_mul_hi_u32 s2, s30, s34
	s_mul_i32 s25, s31, s34
	s_add_nc_u64 s[36:37], s[2:3], s[36:37]
	s_mul_hi_u32 s0, s31, s34
	s_mul_hi_u32 s33, s31, s35
	s_add_co_u32 s2, s36, s25
	s_add_co_ci_u32 s2, s37, s0
	s_mul_i32 s34, s31, s35
	s_add_co_ci_u32 s35, s33, 0
	s_delay_alu instid0(SALU_CYCLE_1) | instskip(NEXT) | instid1(SALU_CYCLE_1)
	s_add_nc_u64 s[34:35], s[2:3], s[34:35]
	s_add_co_u32 s0, s30, s34
	s_cselect_b32 s2, -1, 0
	v_mul_hi_u32 v24, v16, s0
	s_cmp_lg_u32 s2, 0
	s_add_co_ci_u32 s2, s31, s35
	s_and_b64 s[30:31], s[0:1], s[6:7]
	v_mul_u64_e32 v[18:19], s[2:3], v[16:17]
	v_mul_u64_e32 v[12:13], s[30:31], v[20:21]
	;; [unrolled: 1-line block ×3, first 2 shown]
	s_delay_alu instid0(VALU_DEP_3) | instskip(NEXT) | instid1(VALU_DEP_1)
	v_add_nc_u64_e32 v[18:19], v[24:25], v[18:19]
	v_add_co_u32 v3, vcc_lo, v18, v12
	s_delay_alu instid0(VALU_DEP_2) | instskip(NEXT) | instid1(VALU_DEP_4)
	v_add_co_ci_u32_e32 v24, vcc_lo, v19, v13, vcc_lo
	v_add_co_ci_u32_e32 v23, vcc_lo, 0, v23, vcc_lo
	s_delay_alu instid0(VALU_DEP_1) | instskip(NEXT) | instid1(VALU_DEP_1)
	v_add_nc_u64_e32 v[12:13], v[24:25], v[22:23]
	v_mul_u64_e32 v[18:19], s[28:29], v[12:13]
	s_delay_alu instid0(VALU_DEP_1) | instskip(NEXT) | instid1(VALU_DEP_2)
	v_sub_nc_u32_e32 v3, v20, v19
	v_sub_co_u32 v11, vcc_lo, v16, v18
	s_delay_alu instid0(VALU_DEP_1) | instskip(NEXT) | instid1(VALU_DEP_3)
	v_sub_co_ci_u32_e64 v20, null, v20, v19, vcc_lo
	v_subrev_co_ci_u32_e64 v3, null, s29, v3, vcc_lo
	s_delay_alu instid0(VALU_DEP_3) | instskip(SKIP_1) | instid1(VALU_DEP_3)
	v_sub_co_u32 v15, s0, v11, s28
	v_add_nc_u64_e32 v[18:19], 1, v[12:13]
	v_subrev_co_ci_u32_e64 v3, null, 0, v3, s0
	s_delay_alu instid0(VALU_DEP_3) | instskip(SKIP_1) | instid1(VALU_DEP_3)
	v_cmp_le_u32_e32 vcc_lo, s28, v15
	v_cndmask_b32_e64 v15, 0, -1, vcc_lo
	v_cmp_le_u32_e32 vcc_lo, s29, v3
	v_cndmask_b32_e64 v16, 0, -1, vcc_lo
	;; [unrolled: 2-line block ×4, first 2 shown]
	v_cmp_eq_u32_e32 vcc_lo, s29, v3
	v_cndmask_b32_e32 v3, v16, v15, vcc_lo
	v_cmp_eq_u32_e32 vcc_lo, s29, v20
	v_add_nc_u64_e32 v[16:17], 2, v[12:13]
	v_cndmask_b32_e32 v11, v21, v11, vcc_lo
	s_delay_alu instid0(VALU_DEP_4) | instskip(NEXT) | instid1(VALU_DEP_3)
	v_cmp_ne_u32_e32 vcc_lo, 0, v3
	v_cndmask_b32_e32 v3, v19, v17, vcc_lo
	s_delay_alu instid0(VALU_DEP_3) | instskip(SKIP_1) | instid1(VALU_DEP_2)
	v_cmp_ne_u32_e64 s0, 0, v11
	v_dual_cndmask_b32 v11, v18, v16, vcc_lo :: v_dual_bitop2_b32 v10, s24, v10 bitop3:0x14
	v_cndmask_b32_e64 v3, v13, v3, s0
	s_delay_alu instid0(VALU_DEP_2) | instskip(NEXT) | instid1(VALU_DEP_2)
	v_dual_cndmask_b32 v12, v12, v11, s0 :: v_dual_mov_b32 v11, v10
	v_xor_b32_e32 v13, v3, v10
	s_delay_alu instid0(VALU_DEP_2) | instskip(NEXT) | instid1(VALU_DEP_1)
	v_xor_b32_e32 v12, v12, v10
	v_sub_nc_u64_e32 v[12:13], v[12:13], v[10:11]
.LBB19_5:                               ;   in Loop: Header=BB19_3 Depth=1
	s_and_not1_saveexec_b32 s0, s27
	s_cbranch_execz .LBB19_7
; %bb.6:                                ;   in Loop: Header=BB19_3 Depth=1
	v_mul_hi_u32 v3, v7, v14
	v_mov_b32_e32 v13, v2
	s_delay_alu instid0(VALU_DEP_2) | instskip(NEXT) | instid1(VALU_DEP_1)
	v_mul_lo_u32 v10, v3, s14
	v_dual_add_nc_u32 v11, 1, v3 :: v_dual_sub_nc_u32 v10, v7, v10
	s_delay_alu instid0(VALU_DEP_1) | instskip(SKIP_1) | instid1(VALU_DEP_2)
	v_subrev_nc_u32_e32 v12, s14, v10
	v_cmp_le_u32_e32 vcc_lo, s14, v10
	v_dual_cndmask_b32 v10, v10, v12 :: v_dual_cndmask_b32 v3, v3, v11
	s_delay_alu instid0(VALU_DEP_1) | instskip(NEXT) | instid1(VALU_DEP_2)
	v_cmp_le_u32_e32 vcc_lo, s14, v10
	v_add_nc_u32_e32 v11, 1, v3
	s_delay_alu instid0(VALU_DEP_1)
	v_cndmask_b32_e32 v12, v3, v11, vcc_lo
.LBB19_7:                               ;   in Loop: Header=BB19_3 Depth=1
	s_or_b32 exec_lo, exec_lo, s0
	s_delay_alu instid0(VALU_DEP_1) | instskip(SKIP_1) | instid1(VALU_DEP_1)
	v_or_b32_e32 v3, s13, v13
                                        ; implicit-def: $vgpr10_vgpr11
	s_mov_b32 s0, exec_lo
	v_cmpx_ne_u64_e32 0, v[2:3]
	s_xor_b32 s25, exec_lo, s0
	s_cbranch_execz .LBB19_9
; %bb.8:                                ;   in Loop: Header=BB19_3 Depth=1
	s_mov_b32 s27, s26
	v_dual_mov_b32 v17, v2 :: v_dual_ashrrev_i32 v10, 31, v13
	s_add_nc_u64 s[28:29], s[12:13], s[26:27]
	s_delay_alu instid0(SALU_CYCLE_1) | instskip(NEXT) | instid1(VALU_DEP_1)
	s_xor_b64 s[28:29], s[28:29], s[26:27]
	v_mov_b32_e32 v11, v10
	s_cvt_f32_u32 s0, s28
	s_cvt_f32_u32 s2, s29
	s_sub_nc_u64 s[34:35], 0, s[28:29]
	s_delay_alu instid0(VALU_DEP_1) | instskip(NEXT) | instid1(SALU_CYCLE_1)
	v_add_nc_u64_e32 v[12:13], v[12:13], v[10:11]
	s_fmamk_f32 s0, s2, 0x4f800000, s0
	v_mov_b32_e32 v21, v2
	s_delay_alu instid0(SALU_CYCLE_2) | instskip(NEXT) | instid1(VALU_DEP_2)
	v_s_rcp_f32 s0, s0
	v_xor_b32_e32 v16, v12, v10
	s_delay_alu instid0(VALU_DEP_3) | instskip(NEXT) | instid1(TRANS32_DEP_1)
	v_dual_mov_b32 v25, v2 :: v_dual_bitop2_b32 v20, v13, v10 bitop3:0x14
	s_mul_f32 s0, s0, 0x5f7ffffc
	s_delay_alu instid0(SALU_CYCLE_3) | instskip(NEXT) | instid1(SALU_CYCLE_3)
	s_mul_f32 s2, s0, 0x2f800000
	s_trunc_f32 s2, s2
	s_delay_alu instid0(SALU_CYCLE_3) | instskip(SKIP_1) | instid1(SALU_CYCLE_2)
	s_fmamk_f32 s0, s2, 0xcf800000, s0
	s_cvt_u32_f32 s31, s2
	s_cvt_u32_f32 s30, s0
	s_delay_alu instid0(SALU_CYCLE_3) | instskip(NEXT) | instid1(SALU_CYCLE_1)
	s_mul_u64 s[36:37], s[34:35], s[30:31]
	s_mul_hi_u32 s39, s30, s37
	s_mul_i32 s38, s30, s37
	s_mul_hi_u32 s2, s30, s36
	s_mul_i32 s27, s31, s36
	s_add_nc_u64 s[38:39], s[2:3], s[38:39]
	s_mul_hi_u32 s0, s31, s36
	s_mul_hi_u32 s33, s31, s37
	s_add_co_u32 s2, s38, s27
	s_add_co_ci_u32 s2, s39, s0
	s_mul_i32 s36, s31, s37
	s_add_co_ci_u32 s37, s33, 0
	s_delay_alu instid0(SALU_CYCLE_1) | instskip(NEXT) | instid1(SALU_CYCLE_1)
	s_add_nc_u64 s[36:37], s[2:3], s[36:37]
	s_add_co_u32 s30, s30, s36
	s_cselect_b32 s0, -1, 0
	s_delay_alu instid0(SALU_CYCLE_1) | instskip(SKIP_1) | instid1(SALU_CYCLE_1)
	s_cmp_lg_u32 s0, 0
	s_add_co_ci_u32 s31, s31, s37
	s_mul_u64 s[34:35], s[34:35], s[30:31]
	s_delay_alu instid0(SALU_CYCLE_1)
	s_mul_hi_u32 s37, s30, s35
	s_mul_i32 s36, s30, s35
	s_mul_hi_u32 s2, s30, s34
	s_mul_i32 s27, s31, s34
	s_add_nc_u64 s[36:37], s[2:3], s[36:37]
	s_mul_hi_u32 s0, s31, s34
	s_mul_hi_u32 s33, s31, s35
	s_add_co_u32 s2, s36, s27
	s_add_co_ci_u32 s2, s37, s0
	s_mul_i32 s34, s31, s35
	s_add_co_ci_u32 s35, s33, 0
	s_delay_alu instid0(SALU_CYCLE_1) | instskip(NEXT) | instid1(SALU_CYCLE_1)
	s_add_nc_u64 s[34:35], s[2:3], s[34:35]
	s_add_co_u32 s0, s30, s34
	s_cselect_b32 s2, -1, 0
	v_mul_hi_u32 v24, v16, s0
	s_cmp_lg_u32 s2, 0
	s_add_co_ci_u32 s2, s31, s35
	s_and_b64 s[30:31], s[0:1], s[6:7]
	v_mul_u64_e32 v[18:19], s[2:3], v[16:17]
	v_mul_u64_e32 v[12:13], s[30:31], v[20:21]
	;; [unrolled: 1-line block ×3, first 2 shown]
	s_delay_alu instid0(VALU_DEP_3) | instskip(NEXT) | instid1(VALU_DEP_1)
	v_add_nc_u64_e32 v[18:19], v[24:25], v[18:19]
	v_add_co_u32 v3, vcc_lo, v18, v12
	s_delay_alu instid0(VALU_DEP_2) | instskip(NEXT) | instid1(VALU_DEP_4)
	v_add_co_ci_u32_e32 v24, vcc_lo, v19, v13, vcc_lo
	v_add_co_ci_u32_e32 v23, vcc_lo, 0, v23, vcc_lo
	s_delay_alu instid0(VALU_DEP_1) | instskip(NEXT) | instid1(VALU_DEP_1)
	v_add_nc_u64_e32 v[12:13], v[24:25], v[22:23]
	v_mul_u64_e32 v[18:19], s[28:29], v[12:13]
	s_delay_alu instid0(VALU_DEP_1) | instskip(NEXT) | instid1(VALU_DEP_2)
	v_sub_nc_u32_e32 v3, v20, v19
	v_sub_co_u32 v11, vcc_lo, v16, v18
	s_delay_alu instid0(VALU_DEP_1) | instskip(NEXT) | instid1(VALU_DEP_3)
	v_sub_co_ci_u32_e64 v20, null, v20, v19, vcc_lo
	v_subrev_co_ci_u32_e64 v3, null, s29, v3, vcc_lo
	s_delay_alu instid0(VALU_DEP_3) | instskip(SKIP_1) | instid1(VALU_DEP_3)
	v_sub_co_u32 v15, s0, v11, s28
	v_add_nc_u64_e32 v[18:19], 1, v[12:13]
	v_subrev_co_ci_u32_e64 v3, null, 0, v3, s0
	s_delay_alu instid0(VALU_DEP_3) | instskip(SKIP_1) | instid1(VALU_DEP_3)
	v_cmp_le_u32_e32 vcc_lo, s28, v15
	v_cndmask_b32_e64 v15, 0, -1, vcc_lo
	v_cmp_le_u32_e32 vcc_lo, s29, v3
	v_cndmask_b32_e64 v16, 0, -1, vcc_lo
	v_cmp_le_u32_e32 vcc_lo, s28, v11
	v_cndmask_b32_e64 v11, 0, -1, vcc_lo
	v_cmp_le_u32_e32 vcc_lo, s29, v20
	v_cndmask_b32_e64 v21, 0, -1, vcc_lo
	v_cmp_eq_u32_e32 vcc_lo, s29, v3
	v_cndmask_b32_e32 v3, v16, v15, vcc_lo
	v_cmp_eq_u32_e32 vcc_lo, s29, v20
	v_add_nc_u64_e32 v[16:17], 2, v[12:13]
	v_cndmask_b32_e32 v11, v21, v11, vcc_lo
	s_delay_alu instid0(VALU_DEP_4) | instskip(NEXT) | instid1(VALU_DEP_3)
	v_cmp_ne_u32_e32 vcc_lo, 0, v3
	v_cndmask_b32_e32 v3, v19, v17, vcc_lo
	s_delay_alu instid0(VALU_DEP_3) | instskip(SKIP_1) | instid1(VALU_DEP_2)
	v_cmp_ne_u32_e64 s0, 0, v11
	v_dual_cndmask_b32 v11, v18, v16, vcc_lo :: v_dual_bitop2_b32 v10, s26, v10 bitop3:0x14
	v_cndmask_b32_e64 v3, v13, v3, s0
	s_delay_alu instid0(VALU_DEP_2) | instskip(NEXT) | instid1(VALU_DEP_2)
	v_dual_cndmask_b32 v12, v12, v11, s0 :: v_dual_mov_b32 v11, v10
	v_xor_b32_e32 v13, v3, v10
	s_delay_alu instid0(VALU_DEP_2) | instskip(NEXT) | instid1(VALU_DEP_1)
	v_xor_b32_e32 v12, v12, v10
	v_sub_nc_u64_e32 v[10:11], v[12:13], v[10:11]
                                        ; implicit-def: $vgpr12_vgpr13
.LBB19_9:                               ;   in Loop: Header=BB19_3 Depth=1
	s_and_not1_saveexec_b32 s0, s25
	s_cbranch_execz .LBB19_11
; %bb.10:                               ;   in Loop: Header=BB19_3 Depth=1
	v_cvt_f32_u32_e32 v3, s12
	s_sub_co_i32 s2, 0, s12
	s_delay_alu instid0(VALU_DEP_1) | instskip(SKIP_1) | instid1(TRANS32_DEP_1)
	v_rcp_iflag_f32_e32 v3, v3
	v_nop
	v_mul_f32_e32 v3, 0x4f7ffffe, v3
	s_delay_alu instid0(VALU_DEP_1) | instskip(NEXT) | instid1(VALU_DEP_1)
	v_cvt_u32_f32_e32 v3, v3
	v_mul_lo_u32 v10, s2, v3
	s_delay_alu instid0(VALU_DEP_1) | instskip(NEXT) | instid1(VALU_DEP_1)
	v_mul_hi_u32 v10, v3, v10
	v_add_nc_u32_e32 v3, v3, v10
	s_delay_alu instid0(VALU_DEP_1) | instskip(NEXT) | instid1(VALU_DEP_1)
	v_mul_hi_u32 v3, v12, v3
	v_mul_lo_u32 v10, v3, s12
	s_delay_alu instid0(VALU_DEP_1) | instskip(NEXT) | instid1(VALU_DEP_1)
	v_dual_add_nc_u32 v11, 1, v3 :: v_dual_sub_nc_u32 v10, v12, v10
	v_subrev_nc_u32_e32 v12, s12, v10
	v_cmp_le_u32_e32 vcc_lo, s12, v10
	s_delay_alu instid0(VALU_DEP_2) | instskip(NEXT) | instid1(VALU_DEP_1)
	v_dual_cndmask_b32 v10, v10, v12 :: v_dual_cndmask_b32 v3, v3, v11
	v_cmp_le_u32_e32 vcc_lo, s12, v10
	s_delay_alu instid0(VALU_DEP_2) | instskip(NEXT) | instid1(VALU_DEP_1)
	v_add_nc_u32_e32 v11, 1, v3
	v_dual_cndmask_b32 v10, v3, v11 :: v_dual_mov_b32 v11, v2
.LBB19_11:                              ;   in Loop: Header=BB19_3 Depth=1
	s_or_b32 exec_lo, exec_lo, s0
	s_delay_alu instid0(VALU_DEP_1) | instskip(SKIP_1) | instid1(VALU_DEP_1)
	v_or_b32_e32 v3, s11, v11
                                        ; implicit-def: $vgpr12_vgpr13
	s_mov_b32 s0, exec_lo
	v_cmpx_ne_u64_e32 0, v[2:3]
	s_xor_b32 s25, exec_lo, s0
	s_cbranch_execz .LBB19_13
; %bb.12:                               ;   in Loop: Header=BB19_3 Depth=1
	s_ashr_i32 s28, s11, 31
	v_dual_mov_b32 v19, v2 :: v_dual_ashrrev_i32 v12, 31, v11
	s_mov_b32 s29, s28
	v_mov_b32_e32 v23, v2
	s_add_nc_u64 s[30:31], s[10:11], s[28:29]
	s_delay_alu instid0(VALU_DEP_2)
	v_mov_b32_e32 v13, v12
	s_xor_b64 s[30:31], s[30:31], s[28:29]
	v_mov_b32_e32 v27, v2
	s_cvt_f32_u32 s0, s30
	s_cvt_f32_u32 s2, s31
	s_sub_nc_u64 s[36:37], 0, s[30:31]
	v_add_nc_u64_e32 v[16:17], v[10:11], v[12:13]
	s_delay_alu instid0(SALU_CYCLE_1) | instskip(NEXT) | instid1(SALU_CYCLE_3)
	s_fmamk_f32 s0, s2, 0x4f800000, s0
	v_s_rcp_f32 s0, s0
	s_delay_alu instid0(VALU_DEP_1) | instskip(NEXT) | instid1(VALU_DEP_2)
	v_xor_b32_e32 v18, v16, v12
	v_xor_b32_e32 v22, v17, v12
	s_delay_alu instid0(TRANS32_DEP_1) | instskip(NEXT) | instid1(SALU_CYCLE_3)
	s_mul_f32 s0, s0, 0x5f7ffffc
	s_mul_f32 s2, s0, 0x2f800000
	s_delay_alu instid0(SALU_CYCLE_3) | instskip(NEXT) | instid1(SALU_CYCLE_3)
	s_trunc_f32 s2, s2
	s_fmamk_f32 s0, s2, 0xcf800000, s0
	s_cvt_u32_f32 s35, s2
	s_delay_alu instid0(SALU_CYCLE_2) | instskip(NEXT) | instid1(SALU_CYCLE_3)
	s_cvt_u32_f32 s34, s0
	s_mul_u64 s[38:39], s[36:37], s[34:35]
	s_delay_alu instid0(SALU_CYCLE_1)
	s_mul_hi_u32 s41, s34, s39
	s_mul_i32 s40, s34, s39
	s_mul_hi_u32 s2, s34, s38
	s_mul_i32 s27, s35, s38
	s_add_nc_u64 s[40:41], s[2:3], s[40:41]
	s_mul_hi_u32 s0, s35, s38
	s_mul_hi_u32 s29, s35, s39
	s_add_co_u32 s2, s40, s27
	s_add_co_ci_u32 s2, s41, s0
	s_mul_i32 s38, s35, s39
	s_add_co_ci_u32 s39, s29, 0
	s_delay_alu instid0(SALU_CYCLE_1) | instskip(NEXT) | instid1(SALU_CYCLE_1)
	s_add_nc_u64 s[38:39], s[2:3], s[38:39]
	s_add_co_u32 s34, s34, s38
	s_cselect_b32 s0, -1, 0
	s_delay_alu instid0(SALU_CYCLE_1) | instskip(SKIP_1) | instid1(SALU_CYCLE_1)
	s_cmp_lg_u32 s0, 0
	s_add_co_ci_u32 s35, s35, s39
	s_mul_u64 s[36:37], s[36:37], s[34:35]
	s_delay_alu instid0(SALU_CYCLE_1)
	s_mul_hi_u32 s39, s34, s37
	s_mul_i32 s38, s34, s37
	s_mul_hi_u32 s2, s34, s36
	s_mul_i32 s27, s35, s36
	s_add_nc_u64 s[38:39], s[2:3], s[38:39]
	s_mul_hi_u32 s0, s35, s36
	s_mul_hi_u32 s29, s35, s37
	s_add_co_u32 s2, s38, s27
	s_add_co_ci_u32 s2, s39, s0
	s_mul_i32 s36, s35, s37
	s_add_co_ci_u32 s37, s29, 0
	s_delay_alu instid0(SALU_CYCLE_1) | instskip(NEXT) | instid1(SALU_CYCLE_1)
	s_add_nc_u64 s[36:37], s[2:3], s[36:37]
	s_add_co_u32 s0, s34, s36
	s_cselect_b32 s2, -1, 0
	v_mul_hi_u32 v26, v18, s0
	s_cmp_lg_u32 s2, 0
	s_add_co_ci_u32 s2, s35, s37
	s_and_b64 s[34:35], s[0:1], s[6:7]
	v_mul_u64_e32 v[20:21], s[2:3], v[18:19]
	v_mul_u64_e32 v[16:17], s[34:35], v[22:23]
	;; [unrolled: 1-line block ×3, first 2 shown]
	s_delay_alu instid0(VALU_DEP_3) | instskip(NEXT) | instid1(VALU_DEP_1)
	v_add_nc_u64_e32 v[20:21], v[26:27], v[20:21]
	v_add_co_u32 v3, vcc_lo, v20, v16
	s_delay_alu instid0(VALU_DEP_2) | instskip(NEXT) | instid1(VALU_DEP_4)
	v_add_co_ci_u32_e32 v26, vcc_lo, v21, v17, vcc_lo
	v_add_co_ci_u32_e32 v25, vcc_lo, 0, v25, vcc_lo
	s_delay_alu instid0(VALU_DEP_1) | instskip(NEXT) | instid1(VALU_DEP_1)
	v_add_nc_u64_e32 v[16:17], v[26:27], v[24:25]
	v_mul_u64_e32 v[20:21], s[30:31], v[16:17]
	s_delay_alu instid0(VALU_DEP_1) | instskip(NEXT) | instid1(VALU_DEP_2)
	v_sub_nc_u32_e32 v3, v22, v21
	v_sub_co_u32 v11, vcc_lo, v18, v20
	s_delay_alu instid0(VALU_DEP_1) | instskip(NEXT) | instid1(VALU_DEP_3)
	v_sub_co_ci_u32_e64 v15, null, v22, v21, vcc_lo
	v_subrev_co_ci_u32_e64 v3, null, s31, v3, vcc_lo
	s_delay_alu instid0(VALU_DEP_3) | instskip(SKIP_1) | instid1(VALU_DEP_3)
	v_sub_co_u32 v13, s0, v11, s30
	v_add_nc_u64_e32 v[20:21], 1, v[16:17]
	v_subrev_co_ci_u32_e64 v3, null, 0, v3, s0
	s_delay_alu instid0(VALU_DEP_3) | instskip(SKIP_1) | instid1(VALU_DEP_3)
	v_cmp_le_u32_e32 vcc_lo, s30, v13
	v_cndmask_b32_e64 v13, 0, -1, vcc_lo
	v_cmp_le_u32_e32 vcc_lo, s31, v3
	v_cndmask_b32_e64 v18, 0, -1, vcc_lo
	;; [unrolled: 2-line block ×4, first 2 shown]
	v_cmp_eq_u32_e32 vcc_lo, s31, v3
	v_cndmask_b32_e32 v3, v18, v13, vcc_lo
	v_cmp_eq_u32_e32 vcc_lo, s31, v15
	v_add_nc_u64_e32 v[18:19], 2, v[16:17]
	v_cndmask_b32_e32 v11, v22, v11, vcc_lo
	s_delay_alu instid0(VALU_DEP_4) | instskip(NEXT) | instid1(VALU_DEP_2)
	v_cmp_ne_u32_e32 vcc_lo, 0, v3
	v_cmp_ne_u32_e64 s0, 0, v11
	s_delay_alu instid0(VALU_DEP_4) | instskip(NEXT) | instid1(VALU_DEP_1)
	v_dual_cndmask_b32 v3, v21, v19, vcc_lo :: v_dual_cndmask_b32 v11, v20, v18, vcc_lo
	v_dual_cndmask_b32 v3, v17, v3, s0 :: v_dual_bitop2_b32 v12, s28, v12 bitop3:0x14
	s_delay_alu instid0(VALU_DEP_1) | instskip(NEXT) | instid1(VALU_DEP_1)
	v_dual_cndmask_b32 v11, v16, v11, s0 :: v_dual_bitop2_b32 v17, v3, v12 bitop3:0x14
	v_dual_mov_b32 v13, v12 :: v_dual_bitop2_b32 v16, v11, v12 bitop3:0x14
	s_delay_alu instid0(VALU_DEP_1)
	v_sub_nc_u64_e32 v[12:13], v[16:17], v[12:13]
.LBB19_13:                              ;   in Loop: Header=BB19_3 Depth=1
	s_and_not1_saveexec_b32 s0, s25
	s_cbranch_execz .LBB19_2
; %bb.14:                               ;   in Loop: Header=BB19_3 Depth=1
	v_cvt_f32_u32_e32 v3, s10
	s_sub_co_i32 s2, 0, s10
	s_delay_alu instid0(VALU_DEP_1) | instskip(SKIP_1) | instid1(TRANS32_DEP_1)
	v_rcp_iflag_f32_e32 v3, v3
	v_nop
	v_mul_f32_e32 v3, 0x4f7ffffe, v3
	s_delay_alu instid0(VALU_DEP_1) | instskip(NEXT) | instid1(VALU_DEP_1)
	v_cvt_u32_f32_e32 v3, v3
	v_mul_lo_u32 v11, s2, v3
	s_delay_alu instid0(VALU_DEP_1) | instskip(NEXT) | instid1(VALU_DEP_1)
	v_mul_hi_u32 v11, v3, v11
	v_add_nc_u32_e32 v3, v3, v11
	s_delay_alu instid0(VALU_DEP_1) | instskip(NEXT) | instid1(VALU_DEP_1)
	v_mul_hi_u32 v3, v10, v3
	v_mul_lo_u32 v11, v3, s10
	s_delay_alu instid0(VALU_DEP_1) | instskip(NEXT) | instid1(VALU_DEP_1)
	v_sub_nc_u32_e32 v11, v10, v11
	v_subrev_nc_u32_e32 v13, s10, v11
	v_cmp_le_u32_e32 vcc_lo, s10, v11
	s_delay_alu instid0(VALU_DEP_2) | instskip(NEXT) | instid1(VALU_DEP_1)
	v_dual_cndmask_b32 v11, v11, v13 :: v_dual_add_nc_u32 v12, 1, v3
	v_cndmask_b32_e32 v3, v3, v12, vcc_lo
	s_delay_alu instid0(VALU_DEP_2) | instskip(NEXT) | instid1(VALU_DEP_2)
	v_cmp_le_u32_e32 vcc_lo, s10, v11
	v_add_nc_u32_e32 v12, 1, v3
	s_delay_alu instid0(VALU_DEP_1)
	v_cndmask_b32_e32 v12, v3, v12, vcc_lo
	s_branch .LBB19_2
.LBB19_15:
	s_endpgm
	.section	.rodata,"a",@progbits
	.p2align	6, 0x0
	.amdhsa_kernel _ZN2at6native31max_unpooling2d_backward_kernelIaEEvlPKT_PKllllllPS2_
		.amdhsa_group_segment_fixed_size 0
		.amdhsa_private_segment_fixed_size 0
		.amdhsa_kernarg_size 328
		.amdhsa_user_sgpr_count 2
		.amdhsa_user_sgpr_dispatch_ptr 0
		.amdhsa_user_sgpr_queue_ptr 0
		.amdhsa_user_sgpr_kernarg_segment_ptr 1
		.amdhsa_user_sgpr_dispatch_id 0
		.amdhsa_user_sgpr_kernarg_preload_length 0
		.amdhsa_user_sgpr_kernarg_preload_offset 0
		.amdhsa_user_sgpr_private_segment_size 0
		.amdhsa_wavefront_size32 1
		.amdhsa_uses_dynamic_stack 0
		.amdhsa_enable_private_segment 0
		.amdhsa_system_sgpr_workgroup_id_x 1
		.amdhsa_system_sgpr_workgroup_id_y 0
		.amdhsa_system_sgpr_workgroup_id_z 0
		.amdhsa_system_sgpr_workgroup_info 0
		.amdhsa_system_vgpr_workitem_id 0
		.amdhsa_next_free_vgpr 28
		.amdhsa_next_free_sgpr 42
		.amdhsa_named_barrier_count 0
		.amdhsa_reserve_vcc 1
		.amdhsa_float_round_mode_32 0
		.amdhsa_float_round_mode_16_64 0
		.amdhsa_float_denorm_mode_32 3
		.amdhsa_float_denorm_mode_16_64 3
		.amdhsa_fp16_overflow 0
		.amdhsa_memory_ordered 1
		.amdhsa_forward_progress 1
		.amdhsa_inst_pref_size 21
		.amdhsa_round_robin_scheduling 0
		.amdhsa_exception_fp_ieee_invalid_op 0
		.amdhsa_exception_fp_denorm_src 0
		.amdhsa_exception_fp_ieee_div_zero 0
		.amdhsa_exception_fp_ieee_overflow 0
		.amdhsa_exception_fp_ieee_underflow 0
		.amdhsa_exception_fp_ieee_inexact 0
		.amdhsa_exception_int_div_zero 0
	.end_amdhsa_kernel
	.section	.text._ZN2at6native31max_unpooling2d_backward_kernelIaEEvlPKT_PKllllllPS2_,"axG",@progbits,_ZN2at6native31max_unpooling2d_backward_kernelIaEEvlPKT_PKllllllPS2_,comdat
.Lfunc_end19:
	.size	_ZN2at6native31max_unpooling2d_backward_kernelIaEEvlPKT_PKllllllPS2_, .Lfunc_end19-_ZN2at6native31max_unpooling2d_backward_kernelIaEEvlPKT_PKllllllPS2_
                                        ; -- End function
	.set _ZN2at6native31max_unpooling2d_backward_kernelIaEEvlPKT_PKllllllPS2_.num_vgpr, 28
	.set _ZN2at6native31max_unpooling2d_backward_kernelIaEEvlPKT_PKllllllPS2_.num_agpr, 0
	.set _ZN2at6native31max_unpooling2d_backward_kernelIaEEvlPKT_PKllllllPS2_.numbered_sgpr, 42
	.set _ZN2at6native31max_unpooling2d_backward_kernelIaEEvlPKT_PKllllllPS2_.num_named_barrier, 0
	.set _ZN2at6native31max_unpooling2d_backward_kernelIaEEvlPKT_PKllllllPS2_.private_seg_size, 0
	.set _ZN2at6native31max_unpooling2d_backward_kernelIaEEvlPKT_PKllllllPS2_.uses_vcc, 1
	.set _ZN2at6native31max_unpooling2d_backward_kernelIaEEvlPKT_PKllllllPS2_.uses_flat_scratch, 0
	.set _ZN2at6native31max_unpooling2d_backward_kernelIaEEvlPKT_PKllllllPS2_.has_dyn_sized_stack, 0
	.set _ZN2at6native31max_unpooling2d_backward_kernelIaEEvlPKT_PKllllllPS2_.has_recursion, 0
	.set _ZN2at6native31max_unpooling2d_backward_kernelIaEEvlPKT_PKllllllPS2_.has_indirect_call, 0
	.section	.AMDGPU.csdata,"",@progbits
; Kernel info:
; codeLenInByte = 2616
; TotalNumSgprs: 44
; NumVgprs: 28
; ScratchSize: 0
; MemoryBound: 0
; FloatMode: 240
; IeeeMode: 1
; LDSByteSize: 0 bytes/workgroup (compile time only)
; SGPRBlocks: 0
; VGPRBlocks: 1
; NumSGPRsForWavesPerEU: 44
; NumVGPRsForWavesPerEU: 28
; NamedBarCnt: 0
; Occupancy: 16
; WaveLimiterHint : 1
; COMPUTE_PGM_RSRC2:SCRATCH_EN: 0
; COMPUTE_PGM_RSRC2:USER_SGPR: 2
; COMPUTE_PGM_RSRC2:TRAP_HANDLER: 0
; COMPUTE_PGM_RSRC2:TGID_X_EN: 1
; COMPUTE_PGM_RSRC2:TGID_Y_EN: 0
; COMPUTE_PGM_RSRC2:TGID_Z_EN: 0
; COMPUTE_PGM_RSRC2:TIDIG_COMP_CNT: 0
	.section	.text._ZN2at6native31max_unpooling2d_backward_kernelIiEEvlPKT_PKllllllPS2_,"axG",@progbits,_ZN2at6native31max_unpooling2d_backward_kernelIiEEvlPKT_PKllllllPS2_,comdat
	.protected	_ZN2at6native31max_unpooling2d_backward_kernelIiEEvlPKT_PKllllllPS2_ ; -- Begin function _ZN2at6native31max_unpooling2d_backward_kernelIiEEvlPKT_PKllllllPS2_
	.globl	_ZN2at6native31max_unpooling2d_backward_kernelIiEEvlPKT_PKllllllPS2_
	.p2align	8
	.type	_ZN2at6native31max_unpooling2d_backward_kernelIiEEvlPKT_PKllllllPS2_,@function
_ZN2at6native31max_unpooling2d_backward_kernelIiEEvlPKT_PKllllllPS2_: ; @_ZN2at6native31max_unpooling2d_backward_kernelIiEEvlPKT_PKllllllPS2_
; %bb.0:
	s_load_b32 s2, s[0:1], 0x54
	s_bfe_u32 s4, ttmp6, 0x4000c
	v_mov_b32_e32 v2, 0
	s_add_co_i32 s21, s4, 1
	s_load_b512 s[4:19], s[0:1], 0x0
	s_and_b32 s3, ttmp6, 15
	s_mul_i32 s21, ttmp9, s21
	s_getreg_b32 s20, hwreg(HW_REG_IB_STS2, 6, 4)
	v_mov_b32_e32 v1, v2
	s_add_co_i32 s3, s3, s21
	s_wait_kmcnt 0x0
	s_and_b32 s2, s2, 0xffff
	s_cmp_eq_u32 s20, 0
	s_mov_b32 s20, exec_lo
	s_cselect_b32 s3, ttmp9, s3
	s_delay_alu instid0(SALU_CYCLE_1) | instskip(SKIP_1) | instid1(VALU_DEP_1)
	v_mad_nc_u64_u32 v[0:1], s2, s3, v[0:1]
	s_mov_b32 s3, 0
	v_cmpx_gt_i64_e64 s[4:5], v[0:1]
	s_cbranch_execz .LBB20_15
; %bb.1:
	v_cvt_f32_u32_e32 v3, s14
	s_sub_co_i32 s22, 0, s14
	s_add_nc_u64 s[20:21], s[0:1], 0x48
	v_mov_b64_e32 v[4:5], s[6:7]
	s_load_b32 s23, s[20:21], 0x0
	v_rcp_iflag_f32_e32 v3, v3
	s_wait_xcnt 0x0
	s_load_b64 s[20:21], s[0:1], 0x40
	s_mul_u64 s[16:17], s[18:19], s[16:17]
	s_mov_b32 s19, s3
	s_mov_b64 s[6:7], 0xffffffff
	s_ashr_i32 s24, s15, 31
	s_ashr_i32 s26, s13, 31
	v_nop
	v_mul_f32_e32 v3, 0x4f7ffffe, v3
	s_wait_xcnt 0x0
	s_mov_b32 s1, 0
	s_delay_alu instid0(VALU_DEP_1) | instskip(NEXT) | instid1(VALU_DEP_1)
	v_cvt_u32_f32_e32 v6, v3
	v_mul_lo_u32 v3, s22, v6
	s_mov_b32 s22, s3
	s_wait_kmcnt 0x0
	s_mul_i32 s18, s23, s2
	s_delay_alu instid0(SALU_CYCLE_1) | instskip(NEXT) | instid1(VALU_DEP_1)
	s_mov_b32 s23, s18
	v_mul_hi_u32 v7, v6, v3
	s_delay_alu instid0(VALU_DEP_1) | instskip(NEXT) | instid1(VALU_DEP_1)
	v_dual_mov_b32 v3, v0 :: v_dual_add_nc_u32 v14, v6, v7
	v_mov_b64_e32 v[6:7], v[2:3]
	s_branch .LBB20_3
.LBB20_2:                               ;   in Loop: Header=BB20_3 Depth=1
	s_or_b32 exec_lo, exec_lo, s0
	v_lshl_add_u64 v[16:17], v[8:9], 3, s[8:9]
	s_delay_alu instid0(VALU_DEP_2)
	v_mul_lo_u32 v11, v12, s10
	v_add_nc_u64_e32 v[0:1], s[18:19], v[0:1]
	v_add_nc_u64_e32 v[6:7], s[22:23], v[6:7]
	v_lshl_add_u64 v[8:9], v[8:9], 2, s[20:21]
	global_load_b32 v3, v[16:17], off
	v_ashrrev_i32_e32 v13, 31, v12
	v_cmp_le_i64_e32 vcc_lo, s[4:5], v[0:1]
	v_sub_nc_u32_e32 v10, v10, v11
	s_or_b32 s1, vcc_lo, s1
	s_delay_alu instid0(VALU_DEP_1) | instskip(NEXT) | instid1(VALU_DEP_1)
	v_ashrrev_i32_e32 v11, 31, v10
	v_mad_nc_u64_u32 v[10:11], v12, s10, v[10:11]
	s_delay_alu instid0(VALU_DEP_1) | instskip(NEXT) | instid1(VALU_DEP_1)
	v_mad_u32 v11, v13, s10, v11
	v_mad_u32 v11, v12, s11, v11
	s_delay_alu instid0(VALU_DEP_1) | instskip(NEXT) | instid1(VALU_DEP_1)
	v_mul_u64_e32 v[10:11], s[16:17], v[10:11]
	v_lshl_add_u64 v[4:5], v[10:11], 2, v[4:5]
	s_wait_loadcnt 0x0
	v_ashrrev_i64 v[12:13], 30, v[2:3]
	s_delay_alu instid0(VALU_DEP_1)
	v_add_nc_u64_e32 v[10:11], v[4:5], v[12:13]
	global_load_b32 v3, v[10:11], off
	s_wait_loadcnt 0x0
	global_store_b32 v[8:9], v3, off
	s_wait_xcnt 0x0
	s_and_not1_b32 exec_lo, exec_lo, s1
	s_cbranch_execz .LBB20_15
.LBB20_3:                               ; =>This Inner Loop Header: Depth=1
	s_delay_alu instid0(VALU_DEP_1) | instskip(SKIP_1) | instid1(VALU_DEP_1)
	v_dual_mov_b32 v8, v7 :: v_dual_ashrrev_i32 v9, 31, v7
                                        ; implicit-def: $vgpr12_vgpr13
	s_mov_b32 s0, exec_lo
	v_or_b32_e32 v3, s15, v9
	s_delay_alu instid0(VALU_DEP_1)
	v_cmpx_ne_u64_e32 0, v[2:3]
	s_xor_b32 s27, exec_lo, s0
	s_cbranch_execz .LBB20_5
; %bb.4:                                ;   in Loop: Header=BB20_3 Depth=1
	s_mov_b32 s25, s24
	v_dual_mov_b32 v17, v2 :: v_dual_ashrrev_i32 v10, 31, v9
	s_add_nc_u64 s[28:29], s[14:15], s[24:25]
	s_delay_alu instid0(SALU_CYCLE_1) | instskip(NEXT) | instid1(VALU_DEP_1)
	s_xor_b64 s[28:29], s[28:29], s[24:25]
	v_mov_b32_e32 v11, v10
	s_cvt_f32_u32 s0, s28
	s_cvt_f32_u32 s2, s29
	s_sub_nc_u64 s[34:35], 0, s[28:29]
	s_delay_alu instid0(VALU_DEP_1) | instskip(NEXT) | instid1(SALU_CYCLE_1)
	v_add_nc_u64_e32 v[12:13], v[8:9], v[10:11]
	s_fmamk_f32 s0, s2, 0x4f800000, s0
	v_mov_b32_e32 v21, v2
	s_delay_alu instid0(SALU_CYCLE_2) | instskip(NEXT) | instid1(VALU_DEP_2)
	v_s_rcp_f32 s0, s0
	v_xor_b32_e32 v16, v12, v10
	s_delay_alu instid0(VALU_DEP_3) | instskip(NEXT) | instid1(TRANS32_DEP_1)
	v_dual_mov_b32 v25, v2 :: v_dual_bitop2_b32 v20, v13, v10 bitop3:0x14
	s_mul_f32 s0, s0, 0x5f7ffffc
	s_delay_alu instid0(SALU_CYCLE_3) | instskip(NEXT) | instid1(SALU_CYCLE_3)
	s_mul_f32 s2, s0, 0x2f800000
	s_trunc_f32 s2, s2
	s_delay_alu instid0(SALU_CYCLE_3) | instskip(SKIP_1) | instid1(SALU_CYCLE_2)
	s_fmamk_f32 s0, s2, 0xcf800000, s0
	s_cvt_u32_f32 s31, s2
	s_cvt_u32_f32 s30, s0
	s_delay_alu instid0(SALU_CYCLE_3) | instskip(NEXT) | instid1(SALU_CYCLE_1)
	s_mul_u64 s[36:37], s[34:35], s[30:31]
	s_mul_hi_u32 s39, s30, s37
	s_mul_i32 s38, s30, s37
	s_mul_hi_u32 s2, s30, s36
	s_mul_i32 s25, s31, s36
	s_add_nc_u64 s[38:39], s[2:3], s[38:39]
	s_mul_hi_u32 s0, s31, s36
	s_mul_hi_u32 s33, s31, s37
	s_add_co_u32 s2, s38, s25
	s_add_co_ci_u32 s2, s39, s0
	s_mul_i32 s36, s31, s37
	s_add_co_ci_u32 s37, s33, 0
	s_delay_alu instid0(SALU_CYCLE_1) | instskip(NEXT) | instid1(SALU_CYCLE_1)
	s_add_nc_u64 s[36:37], s[2:3], s[36:37]
	s_add_co_u32 s30, s30, s36
	s_cselect_b32 s0, -1, 0
	s_delay_alu instid0(SALU_CYCLE_1) | instskip(SKIP_1) | instid1(SALU_CYCLE_1)
	s_cmp_lg_u32 s0, 0
	s_add_co_ci_u32 s31, s31, s37
	s_mul_u64 s[34:35], s[34:35], s[30:31]
	s_delay_alu instid0(SALU_CYCLE_1)
	s_mul_hi_u32 s37, s30, s35
	s_mul_i32 s36, s30, s35
	s_mul_hi_u32 s2, s30, s34
	s_mul_i32 s25, s31, s34
	s_add_nc_u64 s[36:37], s[2:3], s[36:37]
	s_mul_hi_u32 s0, s31, s34
	s_mul_hi_u32 s33, s31, s35
	s_add_co_u32 s2, s36, s25
	s_add_co_ci_u32 s2, s37, s0
	s_mul_i32 s34, s31, s35
	s_add_co_ci_u32 s35, s33, 0
	s_delay_alu instid0(SALU_CYCLE_1) | instskip(NEXT) | instid1(SALU_CYCLE_1)
	s_add_nc_u64 s[34:35], s[2:3], s[34:35]
	s_add_co_u32 s0, s30, s34
	s_cselect_b32 s2, -1, 0
	v_mul_hi_u32 v24, v16, s0
	s_cmp_lg_u32 s2, 0
	s_add_co_ci_u32 s2, s31, s35
	s_and_b64 s[30:31], s[0:1], s[6:7]
	v_mul_u64_e32 v[18:19], s[2:3], v[16:17]
	v_mul_u64_e32 v[12:13], s[30:31], v[20:21]
	;; [unrolled: 1-line block ×3, first 2 shown]
	s_delay_alu instid0(VALU_DEP_3) | instskip(NEXT) | instid1(VALU_DEP_1)
	v_add_nc_u64_e32 v[18:19], v[24:25], v[18:19]
	v_add_co_u32 v3, vcc_lo, v18, v12
	s_delay_alu instid0(VALU_DEP_2) | instskip(NEXT) | instid1(VALU_DEP_4)
	v_add_co_ci_u32_e32 v24, vcc_lo, v19, v13, vcc_lo
	v_add_co_ci_u32_e32 v23, vcc_lo, 0, v23, vcc_lo
	s_delay_alu instid0(VALU_DEP_1) | instskip(NEXT) | instid1(VALU_DEP_1)
	v_add_nc_u64_e32 v[12:13], v[24:25], v[22:23]
	v_mul_u64_e32 v[18:19], s[28:29], v[12:13]
	s_delay_alu instid0(VALU_DEP_1) | instskip(NEXT) | instid1(VALU_DEP_2)
	v_sub_nc_u32_e32 v3, v20, v19
	v_sub_co_u32 v11, vcc_lo, v16, v18
	s_delay_alu instid0(VALU_DEP_1) | instskip(NEXT) | instid1(VALU_DEP_3)
	v_sub_co_ci_u32_e64 v20, null, v20, v19, vcc_lo
	v_subrev_co_ci_u32_e64 v3, null, s29, v3, vcc_lo
	s_delay_alu instid0(VALU_DEP_3) | instskip(SKIP_1) | instid1(VALU_DEP_3)
	v_sub_co_u32 v15, s0, v11, s28
	v_add_nc_u64_e32 v[18:19], 1, v[12:13]
	v_subrev_co_ci_u32_e64 v3, null, 0, v3, s0
	s_delay_alu instid0(VALU_DEP_3) | instskip(SKIP_1) | instid1(VALU_DEP_3)
	v_cmp_le_u32_e32 vcc_lo, s28, v15
	v_cndmask_b32_e64 v15, 0, -1, vcc_lo
	v_cmp_le_u32_e32 vcc_lo, s29, v3
	v_cndmask_b32_e64 v16, 0, -1, vcc_lo
	;; [unrolled: 2-line block ×4, first 2 shown]
	v_cmp_eq_u32_e32 vcc_lo, s29, v3
	v_cndmask_b32_e32 v3, v16, v15, vcc_lo
	v_cmp_eq_u32_e32 vcc_lo, s29, v20
	v_add_nc_u64_e32 v[16:17], 2, v[12:13]
	v_cndmask_b32_e32 v11, v21, v11, vcc_lo
	s_delay_alu instid0(VALU_DEP_4) | instskip(NEXT) | instid1(VALU_DEP_3)
	v_cmp_ne_u32_e32 vcc_lo, 0, v3
	v_cndmask_b32_e32 v3, v19, v17, vcc_lo
	s_delay_alu instid0(VALU_DEP_3) | instskip(SKIP_1) | instid1(VALU_DEP_2)
	v_cmp_ne_u32_e64 s0, 0, v11
	v_dual_cndmask_b32 v11, v18, v16, vcc_lo :: v_dual_bitop2_b32 v10, s24, v10 bitop3:0x14
	v_cndmask_b32_e64 v3, v13, v3, s0
	s_delay_alu instid0(VALU_DEP_2) | instskip(NEXT) | instid1(VALU_DEP_2)
	v_dual_cndmask_b32 v12, v12, v11, s0 :: v_dual_mov_b32 v11, v10
	v_xor_b32_e32 v13, v3, v10
	s_delay_alu instid0(VALU_DEP_2) | instskip(NEXT) | instid1(VALU_DEP_1)
	v_xor_b32_e32 v12, v12, v10
	v_sub_nc_u64_e32 v[12:13], v[12:13], v[10:11]
.LBB20_5:                               ;   in Loop: Header=BB20_3 Depth=1
	s_and_not1_saveexec_b32 s0, s27
	s_cbranch_execz .LBB20_7
; %bb.6:                                ;   in Loop: Header=BB20_3 Depth=1
	v_mul_hi_u32 v3, v7, v14
	v_mov_b32_e32 v13, v2
	s_delay_alu instid0(VALU_DEP_2) | instskip(NEXT) | instid1(VALU_DEP_1)
	v_mul_lo_u32 v10, v3, s14
	v_dual_add_nc_u32 v11, 1, v3 :: v_dual_sub_nc_u32 v10, v7, v10
	s_delay_alu instid0(VALU_DEP_1) | instskip(SKIP_1) | instid1(VALU_DEP_2)
	v_subrev_nc_u32_e32 v12, s14, v10
	v_cmp_le_u32_e32 vcc_lo, s14, v10
	v_dual_cndmask_b32 v10, v10, v12 :: v_dual_cndmask_b32 v3, v3, v11
	s_delay_alu instid0(VALU_DEP_1) | instskip(NEXT) | instid1(VALU_DEP_2)
	v_cmp_le_u32_e32 vcc_lo, s14, v10
	v_add_nc_u32_e32 v11, 1, v3
	s_delay_alu instid0(VALU_DEP_1)
	v_cndmask_b32_e32 v12, v3, v11, vcc_lo
.LBB20_7:                               ;   in Loop: Header=BB20_3 Depth=1
	s_or_b32 exec_lo, exec_lo, s0
	s_delay_alu instid0(VALU_DEP_1) | instskip(SKIP_1) | instid1(VALU_DEP_1)
	v_or_b32_e32 v3, s13, v13
                                        ; implicit-def: $vgpr10_vgpr11
	s_mov_b32 s0, exec_lo
	v_cmpx_ne_u64_e32 0, v[2:3]
	s_xor_b32 s25, exec_lo, s0
	s_cbranch_execz .LBB20_9
; %bb.8:                                ;   in Loop: Header=BB20_3 Depth=1
	s_mov_b32 s27, s26
	v_dual_mov_b32 v17, v2 :: v_dual_ashrrev_i32 v10, 31, v13
	s_add_nc_u64 s[28:29], s[12:13], s[26:27]
	s_delay_alu instid0(SALU_CYCLE_1) | instskip(NEXT) | instid1(VALU_DEP_1)
	s_xor_b64 s[28:29], s[28:29], s[26:27]
	v_mov_b32_e32 v11, v10
	s_cvt_f32_u32 s0, s28
	s_cvt_f32_u32 s2, s29
	s_sub_nc_u64 s[34:35], 0, s[28:29]
	s_delay_alu instid0(VALU_DEP_1) | instskip(NEXT) | instid1(SALU_CYCLE_1)
	v_add_nc_u64_e32 v[12:13], v[12:13], v[10:11]
	s_fmamk_f32 s0, s2, 0x4f800000, s0
	v_mov_b32_e32 v21, v2
	s_delay_alu instid0(SALU_CYCLE_2) | instskip(NEXT) | instid1(VALU_DEP_2)
	v_s_rcp_f32 s0, s0
	v_xor_b32_e32 v16, v12, v10
	s_delay_alu instid0(VALU_DEP_3) | instskip(NEXT) | instid1(TRANS32_DEP_1)
	v_dual_mov_b32 v25, v2 :: v_dual_bitop2_b32 v20, v13, v10 bitop3:0x14
	s_mul_f32 s0, s0, 0x5f7ffffc
	s_delay_alu instid0(SALU_CYCLE_3) | instskip(NEXT) | instid1(SALU_CYCLE_3)
	s_mul_f32 s2, s0, 0x2f800000
	s_trunc_f32 s2, s2
	s_delay_alu instid0(SALU_CYCLE_3) | instskip(SKIP_1) | instid1(SALU_CYCLE_2)
	s_fmamk_f32 s0, s2, 0xcf800000, s0
	s_cvt_u32_f32 s31, s2
	s_cvt_u32_f32 s30, s0
	s_delay_alu instid0(SALU_CYCLE_3) | instskip(NEXT) | instid1(SALU_CYCLE_1)
	s_mul_u64 s[36:37], s[34:35], s[30:31]
	s_mul_hi_u32 s39, s30, s37
	s_mul_i32 s38, s30, s37
	s_mul_hi_u32 s2, s30, s36
	s_mul_i32 s27, s31, s36
	s_add_nc_u64 s[38:39], s[2:3], s[38:39]
	s_mul_hi_u32 s0, s31, s36
	s_mul_hi_u32 s33, s31, s37
	s_add_co_u32 s2, s38, s27
	s_add_co_ci_u32 s2, s39, s0
	s_mul_i32 s36, s31, s37
	s_add_co_ci_u32 s37, s33, 0
	s_delay_alu instid0(SALU_CYCLE_1) | instskip(NEXT) | instid1(SALU_CYCLE_1)
	s_add_nc_u64 s[36:37], s[2:3], s[36:37]
	s_add_co_u32 s30, s30, s36
	s_cselect_b32 s0, -1, 0
	s_delay_alu instid0(SALU_CYCLE_1) | instskip(SKIP_1) | instid1(SALU_CYCLE_1)
	s_cmp_lg_u32 s0, 0
	s_add_co_ci_u32 s31, s31, s37
	s_mul_u64 s[34:35], s[34:35], s[30:31]
	s_delay_alu instid0(SALU_CYCLE_1)
	s_mul_hi_u32 s37, s30, s35
	s_mul_i32 s36, s30, s35
	s_mul_hi_u32 s2, s30, s34
	s_mul_i32 s27, s31, s34
	s_add_nc_u64 s[36:37], s[2:3], s[36:37]
	s_mul_hi_u32 s0, s31, s34
	s_mul_hi_u32 s33, s31, s35
	s_add_co_u32 s2, s36, s27
	s_add_co_ci_u32 s2, s37, s0
	s_mul_i32 s34, s31, s35
	s_add_co_ci_u32 s35, s33, 0
	s_delay_alu instid0(SALU_CYCLE_1) | instskip(NEXT) | instid1(SALU_CYCLE_1)
	s_add_nc_u64 s[34:35], s[2:3], s[34:35]
	s_add_co_u32 s0, s30, s34
	s_cselect_b32 s2, -1, 0
	v_mul_hi_u32 v24, v16, s0
	s_cmp_lg_u32 s2, 0
	s_add_co_ci_u32 s2, s31, s35
	s_and_b64 s[30:31], s[0:1], s[6:7]
	v_mul_u64_e32 v[18:19], s[2:3], v[16:17]
	v_mul_u64_e32 v[12:13], s[30:31], v[20:21]
	;; [unrolled: 1-line block ×3, first 2 shown]
	s_delay_alu instid0(VALU_DEP_3) | instskip(NEXT) | instid1(VALU_DEP_1)
	v_add_nc_u64_e32 v[18:19], v[24:25], v[18:19]
	v_add_co_u32 v3, vcc_lo, v18, v12
	s_delay_alu instid0(VALU_DEP_2) | instskip(NEXT) | instid1(VALU_DEP_4)
	v_add_co_ci_u32_e32 v24, vcc_lo, v19, v13, vcc_lo
	v_add_co_ci_u32_e32 v23, vcc_lo, 0, v23, vcc_lo
	s_delay_alu instid0(VALU_DEP_1) | instskip(NEXT) | instid1(VALU_DEP_1)
	v_add_nc_u64_e32 v[12:13], v[24:25], v[22:23]
	v_mul_u64_e32 v[18:19], s[28:29], v[12:13]
	s_delay_alu instid0(VALU_DEP_1) | instskip(NEXT) | instid1(VALU_DEP_2)
	v_sub_nc_u32_e32 v3, v20, v19
	v_sub_co_u32 v11, vcc_lo, v16, v18
	s_delay_alu instid0(VALU_DEP_1) | instskip(NEXT) | instid1(VALU_DEP_3)
	v_sub_co_ci_u32_e64 v20, null, v20, v19, vcc_lo
	v_subrev_co_ci_u32_e64 v3, null, s29, v3, vcc_lo
	s_delay_alu instid0(VALU_DEP_3) | instskip(SKIP_1) | instid1(VALU_DEP_3)
	v_sub_co_u32 v15, s0, v11, s28
	v_add_nc_u64_e32 v[18:19], 1, v[12:13]
	v_subrev_co_ci_u32_e64 v3, null, 0, v3, s0
	s_delay_alu instid0(VALU_DEP_3) | instskip(SKIP_1) | instid1(VALU_DEP_3)
	v_cmp_le_u32_e32 vcc_lo, s28, v15
	v_cndmask_b32_e64 v15, 0, -1, vcc_lo
	v_cmp_le_u32_e32 vcc_lo, s29, v3
	v_cndmask_b32_e64 v16, 0, -1, vcc_lo
	;; [unrolled: 2-line block ×4, first 2 shown]
	v_cmp_eq_u32_e32 vcc_lo, s29, v3
	v_cndmask_b32_e32 v3, v16, v15, vcc_lo
	v_cmp_eq_u32_e32 vcc_lo, s29, v20
	v_add_nc_u64_e32 v[16:17], 2, v[12:13]
	v_cndmask_b32_e32 v11, v21, v11, vcc_lo
	s_delay_alu instid0(VALU_DEP_4) | instskip(NEXT) | instid1(VALU_DEP_3)
	v_cmp_ne_u32_e32 vcc_lo, 0, v3
	v_cndmask_b32_e32 v3, v19, v17, vcc_lo
	s_delay_alu instid0(VALU_DEP_3) | instskip(SKIP_1) | instid1(VALU_DEP_2)
	v_cmp_ne_u32_e64 s0, 0, v11
	v_dual_cndmask_b32 v11, v18, v16, vcc_lo :: v_dual_bitop2_b32 v10, s26, v10 bitop3:0x14
	v_cndmask_b32_e64 v3, v13, v3, s0
	s_delay_alu instid0(VALU_DEP_2) | instskip(NEXT) | instid1(VALU_DEP_2)
	v_dual_cndmask_b32 v12, v12, v11, s0 :: v_dual_mov_b32 v11, v10
	v_xor_b32_e32 v13, v3, v10
	s_delay_alu instid0(VALU_DEP_2) | instskip(NEXT) | instid1(VALU_DEP_1)
	v_xor_b32_e32 v12, v12, v10
	v_sub_nc_u64_e32 v[10:11], v[12:13], v[10:11]
                                        ; implicit-def: $vgpr12_vgpr13
.LBB20_9:                               ;   in Loop: Header=BB20_3 Depth=1
	s_and_not1_saveexec_b32 s0, s25
	s_cbranch_execz .LBB20_11
; %bb.10:                               ;   in Loop: Header=BB20_3 Depth=1
	v_cvt_f32_u32_e32 v3, s12
	s_sub_co_i32 s2, 0, s12
	s_delay_alu instid0(VALU_DEP_1) | instskip(SKIP_1) | instid1(TRANS32_DEP_1)
	v_rcp_iflag_f32_e32 v3, v3
	v_nop
	v_mul_f32_e32 v3, 0x4f7ffffe, v3
	s_delay_alu instid0(VALU_DEP_1) | instskip(NEXT) | instid1(VALU_DEP_1)
	v_cvt_u32_f32_e32 v3, v3
	v_mul_lo_u32 v10, s2, v3
	s_delay_alu instid0(VALU_DEP_1) | instskip(NEXT) | instid1(VALU_DEP_1)
	v_mul_hi_u32 v10, v3, v10
	v_add_nc_u32_e32 v3, v3, v10
	s_delay_alu instid0(VALU_DEP_1) | instskip(NEXT) | instid1(VALU_DEP_1)
	v_mul_hi_u32 v3, v12, v3
	v_mul_lo_u32 v10, v3, s12
	s_delay_alu instid0(VALU_DEP_1) | instskip(NEXT) | instid1(VALU_DEP_1)
	v_dual_add_nc_u32 v11, 1, v3 :: v_dual_sub_nc_u32 v10, v12, v10
	v_subrev_nc_u32_e32 v12, s12, v10
	v_cmp_le_u32_e32 vcc_lo, s12, v10
	s_delay_alu instid0(VALU_DEP_2) | instskip(NEXT) | instid1(VALU_DEP_1)
	v_dual_cndmask_b32 v10, v10, v12 :: v_dual_cndmask_b32 v3, v3, v11
	v_cmp_le_u32_e32 vcc_lo, s12, v10
	s_delay_alu instid0(VALU_DEP_2) | instskip(NEXT) | instid1(VALU_DEP_1)
	v_add_nc_u32_e32 v11, 1, v3
	v_dual_cndmask_b32 v10, v3, v11 :: v_dual_mov_b32 v11, v2
.LBB20_11:                              ;   in Loop: Header=BB20_3 Depth=1
	s_or_b32 exec_lo, exec_lo, s0
	s_delay_alu instid0(VALU_DEP_1) | instskip(SKIP_1) | instid1(VALU_DEP_1)
	v_or_b32_e32 v3, s11, v11
                                        ; implicit-def: $vgpr12_vgpr13
	s_mov_b32 s0, exec_lo
	v_cmpx_ne_u64_e32 0, v[2:3]
	s_xor_b32 s25, exec_lo, s0
	s_cbranch_execz .LBB20_13
; %bb.12:                               ;   in Loop: Header=BB20_3 Depth=1
	s_ashr_i32 s28, s11, 31
	v_dual_mov_b32 v19, v2 :: v_dual_ashrrev_i32 v12, 31, v11
	s_mov_b32 s29, s28
	v_mov_b32_e32 v23, v2
	s_add_nc_u64 s[30:31], s[10:11], s[28:29]
	s_delay_alu instid0(VALU_DEP_2)
	v_mov_b32_e32 v13, v12
	s_xor_b64 s[30:31], s[30:31], s[28:29]
	v_mov_b32_e32 v27, v2
	s_cvt_f32_u32 s0, s30
	s_cvt_f32_u32 s2, s31
	s_sub_nc_u64 s[36:37], 0, s[30:31]
	v_add_nc_u64_e32 v[16:17], v[10:11], v[12:13]
	s_delay_alu instid0(SALU_CYCLE_1) | instskip(NEXT) | instid1(SALU_CYCLE_3)
	s_fmamk_f32 s0, s2, 0x4f800000, s0
	v_s_rcp_f32 s0, s0
	s_delay_alu instid0(VALU_DEP_1) | instskip(NEXT) | instid1(VALU_DEP_2)
	v_xor_b32_e32 v18, v16, v12
	v_xor_b32_e32 v22, v17, v12
	s_delay_alu instid0(TRANS32_DEP_1) | instskip(NEXT) | instid1(SALU_CYCLE_3)
	s_mul_f32 s0, s0, 0x5f7ffffc
	s_mul_f32 s2, s0, 0x2f800000
	s_delay_alu instid0(SALU_CYCLE_3) | instskip(NEXT) | instid1(SALU_CYCLE_3)
	s_trunc_f32 s2, s2
	s_fmamk_f32 s0, s2, 0xcf800000, s0
	s_cvt_u32_f32 s35, s2
	s_delay_alu instid0(SALU_CYCLE_2) | instskip(NEXT) | instid1(SALU_CYCLE_3)
	s_cvt_u32_f32 s34, s0
	s_mul_u64 s[38:39], s[36:37], s[34:35]
	s_delay_alu instid0(SALU_CYCLE_1)
	s_mul_hi_u32 s41, s34, s39
	s_mul_i32 s40, s34, s39
	s_mul_hi_u32 s2, s34, s38
	s_mul_i32 s27, s35, s38
	s_add_nc_u64 s[40:41], s[2:3], s[40:41]
	s_mul_hi_u32 s0, s35, s38
	s_mul_hi_u32 s29, s35, s39
	s_add_co_u32 s2, s40, s27
	s_add_co_ci_u32 s2, s41, s0
	s_mul_i32 s38, s35, s39
	s_add_co_ci_u32 s39, s29, 0
	s_delay_alu instid0(SALU_CYCLE_1) | instskip(NEXT) | instid1(SALU_CYCLE_1)
	s_add_nc_u64 s[38:39], s[2:3], s[38:39]
	s_add_co_u32 s34, s34, s38
	s_cselect_b32 s0, -1, 0
	s_delay_alu instid0(SALU_CYCLE_1) | instskip(SKIP_1) | instid1(SALU_CYCLE_1)
	s_cmp_lg_u32 s0, 0
	s_add_co_ci_u32 s35, s35, s39
	s_mul_u64 s[36:37], s[36:37], s[34:35]
	s_delay_alu instid0(SALU_CYCLE_1)
	s_mul_hi_u32 s39, s34, s37
	s_mul_i32 s38, s34, s37
	s_mul_hi_u32 s2, s34, s36
	s_mul_i32 s27, s35, s36
	s_add_nc_u64 s[38:39], s[2:3], s[38:39]
	s_mul_hi_u32 s0, s35, s36
	s_mul_hi_u32 s29, s35, s37
	s_add_co_u32 s2, s38, s27
	s_add_co_ci_u32 s2, s39, s0
	s_mul_i32 s36, s35, s37
	s_add_co_ci_u32 s37, s29, 0
	s_delay_alu instid0(SALU_CYCLE_1) | instskip(NEXT) | instid1(SALU_CYCLE_1)
	s_add_nc_u64 s[36:37], s[2:3], s[36:37]
	s_add_co_u32 s0, s34, s36
	s_cselect_b32 s2, -1, 0
	v_mul_hi_u32 v26, v18, s0
	s_cmp_lg_u32 s2, 0
	s_add_co_ci_u32 s2, s35, s37
	s_and_b64 s[34:35], s[0:1], s[6:7]
	v_mul_u64_e32 v[20:21], s[2:3], v[18:19]
	v_mul_u64_e32 v[16:17], s[34:35], v[22:23]
	v_mul_u64_e32 v[24:25], s[2:3], v[22:23]
	s_delay_alu instid0(VALU_DEP_3) | instskip(NEXT) | instid1(VALU_DEP_1)
	v_add_nc_u64_e32 v[20:21], v[26:27], v[20:21]
	v_add_co_u32 v3, vcc_lo, v20, v16
	s_delay_alu instid0(VALU_DEP_2) | instskip(NEXT) | instid1(VALU_DEP_4)
	v_add_co_ci_u32_e32 v26, vcc_lo, v21, v17, vcc_lo
	v_add_co_ci_u32_e32 v25, vcc_lo, 0, v25, vcc_lo
	s_delay_alu instid0(VALU_DEP_1) | instskip(NEXT) | instid1(VALU_DEP_1)
	v_add_nc_u64_e32 v[16:17], v[26:27], v[24:25]
	v_mul_u64_e32 v[20:21], s[30:31], v[16:17]
	s_delay_alu instid0(VALU_DEP_1) | instskip(NEXT) | instid1(VALU_DEP_2)
	v_sub_nc_u32_e32 v3, v22, v21
	v_sub_co_u32 v11, vcc_lo, v18, v20
	s_delay_alu instid0(VALU_DEP_1) | instskip(NEXT) | instid1(VALU_DEP_3)
	v_sub_co_ci_u32_e64 v15, null, v22, v21, vcc_lo
	v_subrev_co_ci_u32_e64 v3, null, s31, v3, vcc_lo
	s_delay_alu instid0(VALU_DEP_3) | instskip(SKIP_1) | instid1(VALU_DEP_3)
	v_sub_co_u32 v13, s0, v11, s30
	v_add_nc_u64_e32 v[20:21], 1, v[16:17]
	v_subrev_co_ci_u32_e64 v3, null, 0, v3, s0
	s_delay_alu instid0(VALU_DEP_3) | instskip(SKIP_1) | instid1(VALU_DEP_3)
	v_cmp_le_u32_e32 vcc_lo, s30, v13
	v_cndmask_b32_e64 v13, 0, -1, vcc_lo
	v_cmp_le_u32_e32 vcc_lo, s31, v3
	v_cndmask_b32_e64 v18, 0, -1, vcc_lo
	;; [unrolled: 2-line block ×4, first 2 shown]
	v_cmp_eq_u32_e32 vcc_lo, s31, v3
	v_cndmask_b32_e32 v3, v18, v13, vcc_lo
	v_cmp_eq_u32_e32 vcc_lo, s31, v15
	v_add_nc_u64_e32 v[18:19], 2, v[16:17]
	v_cndmask_b32_e32 v11, v22, v11, vcc_lo
	s_delay_alu instid0(VALU_DEP_4) | instskip(NEXT) | instid1(VALU_DEP_2)
	v_cmp_ne_u32_e32 vcc_lo, 0, v3
	v_cmp_ne_u32_e64 s0, 0, v11
	s_delay_alu instid0(VALU_DEP_4) | instskip(NEXT) | instid1(VALU_DEP_1)
	v_dual_cndmask_b32 v3, v21, v19, vcc_lo :: v_dual_cndmask_b32 v11, v20, v18, vcc_lo
	v_dual_cndmask_b32 v3, v17, v3, s0 :: v_dual_bitop2_b32 v12, s28, v12 bitop3:0x14
	s_delay_alu instid0(VALU_DEP_1) | instskip(NEXT) | instid1(VALU_DEP_1)
	v_dual_cndmask_b32 v11, v16, v11, s0 :: v_dual_bitop2_b32 v17, v3, v12 bitop3:0x14
	v_dual_mov_b32 v13, v12 :: v_dual_bitop2_b32 v16, v11, v12 bitop3:0x14
	s_delay_alu instid0(VALU_DEP_1)
	v_sub_nc_u64_e32 v[12:13], v[16:17], v[12:13]
.LBB20_13:                              ;   in Loop: Header=BB20_3 Depth=1
	s_and_not1_saveexec_b32 s0, s25
	s_cbranch_execz .LBB20_2
; %bb.14:                               ;   in Loop: Header=BB20_3 Depth=1
	v_cvt_f32_u32_e32 v3, s10
	s_sub_co_i32 s2, 0, s10
	s_delay_alu instid0(VALU_DEP_1) | instskip(SKIP_1) | instid1(TRANS32_DEP_1)
	v_rcp_iflag_f32_e32 v3, v3
	v_nop
	v_mul_f32_e32 v3, 0x4f7ffffe, v3
	s_delay_alu instid0(VALU_DEP_1) | instskip(NEXT) | instid1(VALU_DEP_1)
	v_cvt_u32_f32_e32 v3, v3
	v_mul_lo_u32 v11, s2, v3
	s_delay_alu instid0(VALU_DEP_1) | instskip(NEXT) | instid1(VALU_DEP_1)
	v_mul_hi_u32 v11, v3, v11
	v_add_nc_u32_e32 v3, v3, v11
	s_delay_alu instid0(VALU_DEP_1) | instskip(NEXT) | instid1(VALU_DEP_1)
	v_mul_hi_u32 v3, v10, v3
	v_mul_lo_u32 v11, v3, s10
	s_delay_alu instid0(VALU_DEP_1) | instskip(NEXT) | instid1(VALU_DEP_1)
	v_sub_nc_u32_e32 v11, v10, v11
	v_subrev_nc_u32_e32 v13, s10, v11
	v_cmp_le_u32_e32 vcc_lo, s10, v11
	s_delay_alu instid0(VALU_DEP_2) | instskip(NEXT) | instid1(VALU_DEP_1)
	v_dual_cndmask_b32 v11, v11, v13 :: v_dual_add_nc_u32 v12, 1, v3
	v_cndmask_b32_e32 v3, v3, v12, vcc_lo
	s_delay_alu instid0(VALU_DEP_2) | instskip(NEXT) | instid1(VALU_DEP_2)
	v_cmp_le_u32_e32 vcc_lo, s10, v11
	v_add_nc_u32_e32 v12, 1, v3
	s_delay_alu instid0(VALU_DEP_1)
	v_cndmask_b32_e32 v12, v3, v12, vcc_lo
	s_branch .LBB20_2
.LBB20_15:
	s_endpgm
	.section	.rodata,"a",@progbits
	.p2align	6, 0x0
	.amdhsa_kernel _ZN2at6native31max_unpooling2d_backward_kernelIiEEvlPKT_PKllllllPS2_
		.amdhsa_group_segment_fixed_size 0
		.amdhsa_private_segment_fixed_size 0
		.amdhsa_kernarg_size 328
		.amdhsa_user_sgpr_count 2
		.amdhsa_user_sgpr_dispatch_ptr 0
		.amdhsa_user_sgpr_queue_ptr 0
		.amdhsa_user_sgpr_kernarg_segment_ptr 1
		.amdhsa_user_sgpr_dispatch_id 0
		.amdhsa_user_sgpr_kernarg_preload_length 0
		.amdhsa_user_sgpr_kernarg_preload_offset 0
		.amdhsa_user_sgpr_private_segment_size 0
		.amdhsa_wavefront_size32 1
		.amdhsa_uses_dynamic_stack 0
		.amdhsa_enable_private_segment 0
		.amdhsa_system_sgpr_workgroup_id_x 1
		.amdhsa_system_sgpr_workgroup_id_y 0
		.amdhsa_system_sgpr_workgroup_id_z 0
		.amdhsa_system_sgpr_workgroup_info 0
		.amdhsa_system_vgpr_workitem_id 0
		.amdhsa_next_free_vgpr 28
		.amdhsa_next_free_sgpr 42
		.amdhsa_named_barrier_count 0
		.amdhsa_reserve_vcc 1
		.amdhsa_float_round_mode_32 0
		.amdhsa_float_round_mode_16_64 0
		.amdhsa_float_denorm_mode_32 3
		.amdhsa_float_denorm_mode_16_64 3
		.amdhsa_fp16_overflow 0
		.amdhsa_memory_ordered 1
		.amdhsa_forward_progress 1
		.amdhsa_inst_pref_size 21
		.amdhsa_round_robin_scheduling 0
		.amdhsa_exception_fp_ieee_invalid_op 0
		.amdhsa_exception_fp_denorm_src 0
		.amdhsa_exception_fp_ieee_div_zero 0
		.amdhsa_exception_fp_ieee_overflow 0
		.amdhsa_exception_fp_ieee_underflow 0
		.amdhsa_exception_fp_ieee_inexact 0
		.amdhsa_exception_int_div_zero 0
	.end_amdhsa_kernel
	.section	.text._ZN2at6native31max_unpooling2d_backward_kernelIiEEvlPKT_PKllllllPS2_,"axG",@progbits,_ZN2at6native31max_unpooling2d_backward_kernelIiEEvlPKT_PKllllllPS2_,comdat
.Lfunc_end20:
	.size	_ZN2at6native31max_unpooling2d_backward_kernelIiEEvlPKT_PKllllllPS2_, .Lfunc_end20-_ZN2at6native31max_unpooling2d_backward_kernelIiEEvlPKT_PKllllllPS2_
                                        ; -- End function
	.set _ZN2at6native31max_unpooling2d_backward_kernelIiEEvlPKT_PKllllllPS2_.num_vgpr, 28
	.set _ZN2at6native31max_unpooling2d_backward_kernelIiEEvlPKT_PKllllllPS2_.num_agpr, 0
	.set _ZN2at6native31max_unpooling2d_backward_kernelIiEEvlPKT_PKllllllPS2_.numbered_sgpr, 42
	.set _ZN2at6native31max_unpooling2d_backward_kernelIiEEvlPKT_PKllllllPS2_.num_named_barrier, 0
	.set _ZN2at6native31max_unpooling2d_backward_kernelIiEEvlPKT_PKllllllPS2_.private_seg_size, 0
	.set _ZN2at6native31max_unpooling2d_backward_kernelIiEEvlPKT_PKllllllPS2_.uses_vcc, 1
	.set _ZN2at6native31max_unpooling2d_backward_kernelIiEEvlPKT_PKllllllPS2_.uses_flat_scratch, 0
	.set _ZN2at6native31max_unpooling2d_backward_kernelIiEEvlPKT_PKllllllPS2_.has_dyn_sized_stack, 0
	.set _ZN2at6native31max_unpooling2d_backward_kernelIiEEvlPKT_PKllllllPS2_.has_recursion, 0
	.set _ZN2at6native31max_unpooling2d_backward_kernelIiEEvlPKT_PKllllllPS2_.has_indirect_call, 0
	.section	.AMDGPU.csdata,"",@progbits
; Kernel info:
; codeLenInByte = 2600
; TotalNumSgprs: 44
; NumVgprs: 28
; ScratchSize: 0
; MemoryBound: 0
; FloatMode: 240
; IeeeMode: 1
; LDSByteSize: 0 bytes/workgroup (compile time only)
; SGPRBlocks: 0
; VGPRBlocks: 1
; NumSGPRsForWavesPerEU: 44
; NumVGPRsForWavesPerEU: 28
; NamedBarCnt: 0
; Occupancy: 16
; WaveLimiterHint : 1
; COMPUTE_PGM_RSRC2:SCRATCH_EN: 0
; COMPUTE_PGM_RSRC2:USER_SGPR: 2
; COMPUTE_PGM_RSRC2:TRAP_HANDLER: 0
; COMPUTE_PGM_RSRC2:TGID_X_EN: 1
; COMPUTE_PGM_RSRC2:TGID_Y_EN: 0
; COMPUTE_PGM_RSRC2:TGID_Z_EN: 0
; COMPUTE_PGM_RSRC2:TIDIG_COMP_CNT: 0
	.section	.text._ZN2at6native31max_unpooling2d_backward_kernelIlEEvlPKT_PKllllllPS2_,"axG",@progbits,_ZN2at6native31max_unpooling2d_backward_kernelIlEEvlPKT_PKllllllPS2_,comdat
	.protected	_ZN2at6native31max_unpooling2d_backward_kernelIlEEvlPKT_PKllllllPS2_ ; -- Begin function _ZN2at6native31max_unpooling2d_backward_kernelIlEEvlPKT_PKllllllPS2_
	.globl	_ZN2at6native31max_unpooling2d_backward_kernelIlEEvlPKT_PKllllllPS2_
	.p2align	8
	.type	_ZN2at6native31max_unpooling2d_backward_kernelIlEEvlPKT_PKllllllPS2_,@function
_ZN2at6native31max_unpooling2d_backward_kernelIlEEvlPKT_PKllllllPS2_: ; @_ZN2at6native31max_unpooling2d_backward_kernelIlEEvlPKT_PKllllllPS2_
; %bb.0:
	s_load_b32 s2, s[0:1], 0x54
	s_bfe_u32 s4, ttmp6, 0x4000c
	v_mov_b32_e32 v2, 0
	s_add_co_i32 s21, s4, 1
	s_load_b512 s[4:19], s[0:1], 0x0
	s_and_b32 s3, ttmp6, 15
	s_mul_i32 s21, ttmp9, s21
	s_getreg_b32 s20, hwreg(HW_REG_IB_STS2, 6, 4)
	v_mov_b32_e32 v1, v2
	s_add_co_i32 s3, s3, s21
	s_wait_kmcnt 0x0
	s_and_b32 s2, s2, 0xffff
	s_cmp_eq_u32 s20, 0
	s_mov_b32 s20, exec_lo
	s_cselect_b32 s3, ttmp9, s3
	s_delay_alu instid0(SALU_CYCLE_1) | instskip(SKIP_1) | instid1(VALU_DEP_1)
	v_mad_nc_u64_u32 v[0:1], s2, s3, v[0:1]
	s_mov_b32 s3, 0
	v_cmpx_gt_i64_e64 s[4:5], v[0:1]
	s_cbranch_execz .LBB21_15
; %bb.1:
	v_cvt_f32_u32_e32 v3, s14
	s_sub_co_i32 s22, 0, s14
	s_add_nc_u64 s[20:21], s[0:1], 0x48
	v_mov_b64_e32 v[4:5], s[6:7]
	s_load_b32 s23, s[20:21], 0x0
	v_rcp_iflag_f32_e32 v3, v3
	s_wait_xcnt 0x0
	s_load_b64 s[20:21], s[0:1], 0x40
	s_mul_u64 s[16:17], s[18:19], s[16:17]
	s_mov_b32 s19, s3
	s_mov_b64 s[6:7], 0xffffffff
	s_ashr_i32 s24, s15, 31
	s_ashr_i32 s26, s13, 31
	v_nop
	v_mul_f32_e32 v3, 0x4f7ffffe, v3
	s_wait_xcnt 0x0
	s_mov_b32 s1, 0
	s_delay_alu instid0(VALU_DEP_1) | instskip(NEXT) | instid1(VALU_DEP_1)
	v_cvt_u32_f32_e32 v6, v3
	v_mul_lo_u32 v3, s22, v6
	s_mov_b32 s22, s3
	s_wait_kmcnt 0x0
	s_mul_i32 s18, s23, s2
	s_delay_alu instid0(SALU_CYCLE_1) | instskip(NEXT) | instid1(VALU_DEP_1)
	s_mov_b32 s23, s18
	v_mul_hi_u32 v7, v6, v3
	s_delay_alu instid0(VALU_DEP_1) | instskip(NEXT) | instid1(VALU_DEP_1)
	v_dual_mov_b32 v3, v0 :: v_dual_add_nc_u32 v14, v6, v7
	v_mov_b64_e32 v[6:7], v[2:3]
	s_branch .LBB21_3
.LBB21_2:                               ;   in Loop: Header=BB21_3 Depth=1
	s_or_b32 exec_lo, exec_lo, s0
	v_lshlrev_b64_e32 v[8:9], 3, v[8:9]
	s_delay_alu instid0(VALU_DEP_2)
	v_mul_lo_u32 v11, v12, s10
	v_add_nc_u64_e32 v[0:1], s[18:19], v[0:1]
	v_add_nc_u64_e32 v[6:7], s[22:23], v[6:7]
	v_ashrrev_i32_e32 v13, 31, v12
	v_add_nc_u64_e32 v[16:17], s[8:9], v[8:9]
	v_add_nc_u64_e32 v[8:9], s[20:21], v[8:9]
	v_cmp_le_i64_e32 vcc_lo, s[4:5], v[0:1]
	v_sub_nc_u32_e32 v10, v10, v11
	global_load_b32 v3, v[16:17], off
	s_or_b32 s1, vcc_lo, s1
	v_ashrrev_i32_e32 v11, 31, v10
	s_delay_alu instid0(VALU_DEP_1) | instskip(NEXT) | instid1(VALU_DEP_1)
	v_mad_nc_u64_u32 v[10:11], v12, s10, v[10:11]
	v_mad_u32 v11, v13, s10, v11
	s_delay_alu instid0(VALU_DEP_1) | instskip(NEXT) | instid1(VALU_DEP_1)
	v_mad_u32 v11, v12, s11, v11
	v_mul_u64_e32 v[10:11], s[16:17], v[10:11]
	s_delay_alu instid0(VALU_DEP_1) | instskip(SKIP_2) | instid1(VALU_DEP_1)
	v_lshl_add_u64 v[4:5], v[10:11], 3, v[4:5]
	s_wait_loadcnt 0x0
	v_ashrrev_i64 v[12:13], 29, v[2:3]
	v_add_nc_u64_e32 v[10:11], v[4:5], v[12:13]
	global_load_b64 v[10:11], v[10:11], off
	s_wait_loadcnt 0x0
	global_store_b64 v[8:9], v[10:11], off
	s_wait_xcnt 0x0
	s_and_not1_b32 exec_lo, exec_lo, s1
	s_cbranch_execz .LBB21_15
.LBB21_3:                               ; =>This Inner Loop Header: Depth=1
	s_delay_alu instid0(VALU_DEP_1) | instskip(SKIP_1) | instid1(VALU_DEP_1)
	v_dual_mov_b32 v8, v7 :: v_dual_ashrrev_i32 v9, 31, v7
                                        ; implicit-def: $vgpr12_vgpr13
	s_mov_b32 s0, exec_lo
	v_or_b32_e32 v3, s15, v9
	s_delay_alu instid0(VALU_DEP_1)
	v_cmpx_ne_u64_e32 0, v[2:3]
	s_xor_b32 s27, exec_lo, s0
	s_cbranch_execz .LBB21_5
; %bb.4:                                ;   in Loop: Header=BB21_3 Depth=1
	s_mov_b32 s25, s24
	v_dual_mov_b32 v17, v2 :: v_dual_ashrrev_i32 v10, 31, v9
	s_add_nc_u64 s[28:29], s[14:15], s[24:25]
	s_delay_alu instid0(SALU_CYCLE_1) | instskip(NEXT) | instid1(VALU_DEP_1)
	s_xor_b64 s[28:29], s[28:29], s[24:25]
	v_mov_b32_e32 v11, v10
	s_cvt_f32_u32 s0, s28
	s_cvt_f32_u32 s2, s29
	s_sub_nc_u64 s[34:35], 0, s[28:29]
	s_delay_alu instid0(VALU_DEP_1) | instskip(NEXT) | instid1(SALU_CYCLE_1)
	v_add_nc_u64_e32 v[12:13], v[8:9], v[10:11]
	s_fmamk_f32 s0, s2, 0x4f800000, s0
	v_mov_b32_e32 v21, v2
	s_delay_alu instid0(SALU_CYCLE_2) | instskip(NEXT) | instid1(VALU_DEP_2)
	v_s_rcp_f32 s0, s0
	v_xor_b32_e32 v16, v12, v10
	s_delay_alu instid0(VALU_DEP_3) | instskip(NEXT) | instid1(TRANS32_DEP_1)
	v_dual_mov_b32 v25, v2 :: v_dual_bitop2_b32 v20, v13, v10 bitop3:0x14
	s_mul_f32 s0, s0, 0x5f7ffffc
	s_delay_alu instid0(SALU_CYCLE_3) | instskip(NEXT) | instid1(SALU_CYCLE_3)
	s_mul_f32 s2, s0, 0x2f800000
	s_trunc_f32 s2, s2
	s_delay_alu instid0(SALU_CYCLE_3) | instskip(SKIP_1) | instid1(SALU_CYCLE_2)
	s_fmamk_f32 s0, s2, 0xcf800000, s0
	s_cvt_u32_f32 s31, s2
	s_cvt_u32_f32 s30, s0
	s_delay_alu instid0(SALU_CYCLE_3) | instskip(NEXT) | instid1(SALU_CYCLE_1)
	s_mul_u64 s[36:37], s[34:35], s[30:31]
	s_mul_hi_u32 s39, s30, s37
	s_mul_i32 s38, s30, s37
	s_mul_hi_u32 s2, s30, s36
	s_mul_i32 s25, s31, s36
	s_add_nc_u64 s[38:39], s[2:3], s[38:39]
	s_mul_hi_u32 s0, s31, s36
	s_mul_hi_u32 s33, s31, s37
	s_add_co_u32 s2, s38, s25
	s_add_co_ci_u32 s2, s39, s0
	s_mul_i32 s36, s31, s37
	s_add_co_ci_u32 s37, s33, 0
	s_delay_alu instid0(SALU_CYCLE_1) | instskip(NEXT) | instid1(SALU_CYCLE_1)
	s_add_nc_u64 s[36:37], s[2:3], s[36:37]
	s_add_co_u32 s30, s30, s36
	s_cselect_b32 s0, -1, 0
	s_delay_alu instid0(SALU_CYCLE_1) | instskip(SKIP_1) | instid1(SALU_CYCLE_1)
	s_cmp_lg_u32 s0, 0
	s_add_co_ci_u32 s31, s31, s37
	s_mul_u64 s[34:35], s[34:35], s[30:31]
	s_delay_alu instid0(SALU_CYCLE_1)
	s_mul_hi_u32 s37, s30, s35
	s_mul_i32 s36, s30, s35
	s_mul_hi_u32 s2, s30, s34
	s_mul_i32 s25, s31, s34
	s_add_nc_u64 s[36:37], s[2:3], s[36:37]
	s_mul_hi_u32 s0, s31, s34
	s_mul_hi_u32 s33, s31, s35
	s_add_co_u32 s2, s36, s25
	s_add_co_ci_u32 s2, s37, s0
	s_mul_i32 s34, s31, s35
	s_add_co_ci_u32 s35, s33, 0
	s_delay_alu instid0(SALU_CYCLE_1) | instskip(NEXT) | instid1(SALU_CYCLE_1)
	s_add_nc_u64 s[34:35], s[2:3], s[34:35]
	s_add_co_u32 s0, s30, s34
	s_cselect_b32 s2, -1, 0
	v_mul_hi_u32 v24, v16, s0
	s_cmp_lg_u32 s2, 0
	s_add_co_ci_u32 s2, s31, s35
	s_and_b64 s[30:31], s[0:1], s[6:7]
	v_mul_u64_e32 v[18:19], s[2:3], v[16:17]
	v_mul_u64_e32 v[12:13], s[30:31], v[20:21]
	;; [unrolled: 1-line block ×3, first 2 shown]
	s_delay_alu instid0(VALU_DEP_3) | instskip(NEXT) | instid1(VALU_DEP_1)
	v_add_nc_u64_e32 v[18:19], v[24:25], v[18:19]
	v_add_co_u32 v3, vcc_lo, v18, v12
	s_delay_alu instid0(VALU_DEP_2) | instskip(NEXT) | instid1(VALU_DEP_4)
	v_add_co_ci_u32_e32 v24, vcc_lo, v19, v13, vcc_lo
	v_add_co_ci_u32_e32 v23, vcc_lo, 0, v23, vcc_lo
	s_delay_alu instid0(VALU_DEP_1) | instskip(NEXT) | instid1(VALU_DEP_1)
	v_add_nc_u64_e32 v[12:13], v[24:25], v[22:23]
	v_mul_u64_e32 v[18:19], s[28:29], v[12:13]
	s_delay_alu instid0(VALU_DEP_1) | instskip(NEXT) | instid1(VALU_DEP_2)
	v_sub_nc_u32_e32 v3, v20, v19
	v_sub_co_u32 v11, vcc_lo, v16, v18
	s_delay_alu instid0(VALU_DEP_1) | instskip(NEXT) | instid1(VALU_DEP_3)
	v_sub_co_ci_u32_e64 v20, null, v20, v19, vcc_lo
	v_subrev_co_ci_u32_e64 v3, null, s29, v3, vcc_lo
	s_delay_alu instid0(VALU_DEP_3) | instskip(SKIP_1) | instid1(VALU_DEP_3)
	v_sub_co_u32 v15, s0, v11, s28
	v_add_nc_u64_e32 v[18:19], 1, v[12:13]
	v_subrev_co_ci_u32_e64 v3, null, 0, v3, s0
	s_delay_alu instid0(VALU_DEP_3) | instskip(SKIP_1) | instid1(VALU_DEP_3)
	v_cmp_le_u32_e32 vcc_lo, s28, v15
	v_cndmask_b32_e64 v15, 0, -1, vcc_lo
	v_cmp_le_u32_e32 vcc_lo, s29, v3
	v_cndmask_b32_e64 v16, 0, -1, vcc_lo
	;; [unrolled: 2-line block ×4, first 2 shown]
	v_cmp_eq_u32_e32 vcc_lo, s29, v3
	v_cndmask_b32_e32 v3, v16, v15, vcc_lo
	v_cmp_eq_u32_e32 vcc_lo, s29, v20
	v_add_nc_u64_e32 v[16:17], 2, v[12:13]
	v_cndmask_b32_e32 v11, v21, v11, vcc_lo
	s_delay_alu instid0(VALU_DEP_4) | instskip(NEXT) | instid1(VALU_DEP_3)
	v_cmp_ne_u32_e32 vcc_lo, 0, v3
	v_cndmask_b32_e32 v3, v19, v17, vcc_lo
	s_delay_alu instid0(VALU_DEP_3) | instskip(SKIP_1) | instid1(VALU_DEP_2)
	v_cmp_ne_u32_e64 s0, 0, v11
	v_dual_cndmask_b32 v11, v18, v16, vcc_lo :: v_dual_bitop2_b32 v10, s24, v10 bitop3:0x14
	v_cndmask_b32_e64 v3, v13, v3, s0
	s_delay_alu instid0(VALU_DEP_2) | instskip(NEXT) | instid1(VALU_DEP_2)
	v_dual_cndmask_b32 v12, v12, v11, s0 :: v_dual_mov_b32 v11, v10
	v_xor_b32_e32 v13, v3, v10
	s_delay_alu instid0(VALU_DEP_2) | instskip(NEXT) | instid1(VALU_DEP_1)
	v_xor_b32_e32 v12, v12, v10
	v_sub_nc_u64_e32 v[12:13], v[12:13], v[10:11]
.LBB21_5:                               ;   in Loop: Header=BB21_3 Depth=1
	s_and_not1_saveexec_b32 s0, s27
	s_cbranch_execz .LBB21_7
; %bb.6:                                ;   in Loop: Header=BB21_3 Depth=1
	v_mul_hi_u32 v3, v7, v14
	v_mov_b32_e32 v13, v2
	s_delay_alu instid0(VALU_DEP_2) | instskip(NEXT) | instid1(VALU_DEP_1)
	v_mul_lo_u32 v10, v3, s14
	v_dual_add_nc_u32 v11, 1, v3 :: v_dual_sub_nc_u32 v10, v7, v10
	s_delay_alu instid0(VALU_DEP_1) | instskip(SKIP_1) | instid1(VALU_DEP_2)
	v_subrev_nc_u32_e32 v12, s14, v10
	v_cmp_le_u32_e32 vcc_lo, s14, v10
	v_dual_cndmask_b32 v10, v10, v12 :: v_dual_cndmask_b32 v3, v3, v11
	s_delay_alu instid0(VALU_DEP_1) | instskip(NEXT) | instid1(VALU_DEP_2)
	v_cmp_le_u32_e32 vcc_lo, s14, v10
	v_add_nc_u32_e32 v11, 1, v3
	s_delay_alu instid0(VALU_DEP_1)
	v_cndmask_b32_e32 v12, v3, v11, vcc_lo
.LBB21_7:                               ;   in Loop: Header=BB21_3 Depth=1
	s_or_b32 exec_lo, exec_lo, s0
	s_delay_alu instid0(VALU_DEP_1) | instskip(SKIP_1) | instid1(VALU_DEP_1)
	v_or_b32_e32 v3, s13, v13
                                        ; implicit-def: $vgpr10_vgpr11
	s_mov_b32 s0, exec_lo
	v_cmpx_ne_u64_e32 0, v[2:3]
	s_xor_b32 s25, exec_lo, s0
	s_cbranch_execz .LBB21_9
; %bb.8:                                ;   in Loop: Header=BB21_3 Depth=1
	s_mov_b32 s27, s26
	v_dual_mov_b32 v17, v2 :: v_dual_ashrrev_i32 v10, 31, v13
	s_add_nc_u64 s[28:29], s[12:13], s[26:27]
	s_delay_alu instid0(SALU_CYCLE_1) | instskip(NEXT) | instid1(VALU_DEP_1)
	s_xor_b64 s[28:29], s[28:29], s[26:27]
	v_mov_b32_e32 v11, v10
	s_cvt_f32_u32 s0, s28
	s_cvt_f32_u32 s2, s29
	s_sub_nc_u64 s[34:35], 0, s[28:29]
	s_delay_alu instid0(VALU_DEP_1) | instskip(NEXT) | instid1(SALU_CYCLE_1)
	v_add_nc_u64_e32 v[12:13], v[12:13], v[10:11]
	s_fmamk_f32 s0, s2, 0x4f800000, s0
	v_mov_b32_e32 v21, v2
	s_delay_alu instid0(SALU_CYCLE_2) | instskip(NEXT) | instid1(VALU_DEP_2)
	v_s_rcp_f32 s0, s0
	v_xor_b32_e32 v16, v12, v10
	s_delay_alu instid0(VALU_DEP_3) | instskip(NEXT) | instid1(TRANS32_DEP_1)
	v_dual_mov_b32 v25, v2 :: v_dual_bitop2_b32 v20, v13, v10 bitop3:0x14
	s_mul_f32 s0, s0, 0x5f7ffffc
	s_delay_alu instid0(SALU_CYCLE_3) | instskip(NEXT) | instid1(SALU_CYCLE_3)
	s_mul_f32 s2, s0, 0x2f800000
	s_trunc_f32 s2, s2
	s_delay_alu instid0(SALU_CYCLE_3) | instskip(SKIP_1) | instid1(SALU_CYCLE_2)
	s_fmamk_f32 s0, s2, 0xcf800000, s0
	s_cvt_u32_f32 s31, s2
	s_cvt_u32_f32 s30, s0
	s_delay_alu instid0(SALU_CYCLE_3) | instskip(NEXT) | instid1(SALU_CYCLE_1)
	s_mul_u64 s[36:37], s[34:35], s[30:31]
	s_mul_hi_u32 s39, s30, s37
	s_mul_i32 s38, s30, s37
	s_mul_hi_u32 s2, s30, s36
	s_mul_i32 s27, s31, s36
	s_add_nc_u64 s[38:39], s[2:3], s[38:39]
	s_mul_hi_u32 s0, s31, s36
	s_mul_hi_u32 s33, s31, s37
	s_add_co_u32 s2, s38, s27
	s_add_co_ci_u32 s2, s39, s0
	s_mul_i32 s36, s31, s37
	s_add_co_ci_u32 s37, s33, 0
	s_delay_alu instid0(SALU_CYCLE_1) | instskip(NEXT) | instid1(SALU_CYCLE_1)
	s_add_nc_u64 s[36:37], s[2:3], s[36:37]
	s_add_co_u32 s30, s30, s36
	s_cselect_b32 s0, -1, 0
	s_delay_alu instid0(SALU_CYCLE_1) | instskip(SKIP_1) | instid1(SALU_CYCLE_1)
	s_cmp_lg_u32 s0, 0
	s_add_co_ci_u32 s31, s31, s37
	s_mul_u64 s[34:35], s[34:35], s[30:31]
	s_delay_alu instid0(SALU_CYCLE_1)
	s_mul_hi_u32 s37, s30, s35
	s_mul_i32 s36, s30, s35
	s_mul_hi_u32 s2, s30, s34
	s_mul_i32 s27, s31, s34
	s_add_nc_u64 s[36:37], s[2:3], s[36:37]
	s_mul_hi_u32 s0, s31, s34
	s_mul_hi_u32 s33, s31, s35
	s_add_co_u32 s2, s36, s27
	s_add_co_ci_u32 s2, s37, s0
	s_mul_i32 s34, s31, s35
	s_add_co_ci_u32 s35, s33, 0
	s_delay_alu instid0(SALU_CYCLE_1) | instskip(NEXT) | instid1(SALU_CYCLE_1)
	s_add_nc_u64 s[34:35], s[2:3], s[34:35]
	s_add_co_u32 s0, s30, s34
	s_cselect_b32 s2, -1, 0
	v_mul_hi_u32 v24, v16, s0
	s_cmp_lg_u32 s2, 0
	s_add_co_ci_u32 s2, s31, s35
	s_and_b64 s[30:31], s[0:1], s[6:7]
	v_mul_u64_e32 v[18:19], s[2:3], v[16:17]
	v_mul_u64_e32 v[12:13], s[30:31], v[20:21]
	;; [unrolled: 1-line block ×3, first 2 shown]
	s_delay_alu instid0(VALU_DEP_3) | instskip(NEXT) | instid1(VALU_DEP_1)
	v_add_nc_u64_e32 v[18:19], v[24:25], v[18:19]
	v_add_co_u32 v3, vcc_lo, v18, v12
	s_delay_alu instid0(VALU_DEP_2) | instskip(NEXT) | instid1(VALU_DEP_4)
	v_add_co_ci_u32_e32 v24, vcc_lo, v19, v13, vcc_lo
	v_add_co_ci_u32_e32 v23, vcc_lo, 0, v23, vcc_lo
	s_delay_alu instid0(VALU_DEP_1) | instskip(NEXT) | instid1(VALU_DEP_1)
	v_add_nc_u64_e32 v[12:13], v[24:25], v[22:23]
	v_mul_u64_e32 v[18:19], s[28:29], v[12:13]
	s_delay_alu instid0(VALU_DEP_1) | instskip(NEXT) | instid1(VALU_DEP_2)
	v_sub_nc_u32_e32 v3, v20, v19
	v_sub_co_u32 v11, vcc_lo, v16, v18
	s_delay_alu instid0(VALU_DEP_1) | instskip(NEXT) | instid1(VALU_DEP_3)
	v_sub_co_ci_u32_e64 v20, null, v20, v19, vcc_lo
	v_subrev_co_ci_u32_e64 v3, null, s29, v3, vcc_lo
	s_delay_alu instid0(VALU_DEP_3) | instskip(SKIP_1) | instid1(VALU_DEP_3)
	v_sub_co_u32 v15, s0, v11, s28
	v_add_nc_u64_e32 v[18:19], 1, v[12:13]
	v_subrev_co_ci_u32_e64 v3, null, 0, v3, s0
	s_delay_alu instid0(VALU_DEP_3) | instskip(SKIP_1) | instid1(VALU_DEP_3)
	v_cmp_le_u32_e32 vcc_lo, s28, v15
	v_cndmask_b32_e64 v15, 0, -1, vcc_lo
	v_cmp_le_u32_e32 vcc_lo, s29, v3
	v_cndmask_b32_e64 v16, 0, -1, vcc_lo
	;; [unrolled: 2-line block ×4, first 2 shown]
	v_cmp_eq_u32_e32 vcc_lo, s29, v3
	v_cndmask_b32_e32 v3, v16, v15, vcc_lo
	v_cmp_eq_u32_e32 vcc_lo, s29, v20
	v_add_nc_u64_e32 v[16:17], 2, v[12:13]
	v_cndmask_b32_e32 v11, v21, v11, vcc_lo
	s_delay_alu instid0(VALU_DEP_4) | instskip(NEXT) | instid1(VALU_DEP_3)
	v_cmp_ne_u32_e32 vcc_lo, 0, v3
	v_cndmask_b32_e32 v3, v19, v17, vcc_lo
	s_delay_alu instid0(VALU_DEP_3) | instskip(SKIP_1) | instid1(VALU_DEP_2)
	v_cmp_ne_u32_e64 s0, 0, v11
	v_dual_cndmask_b32 v11, v18, v16, vcc_lo :: v_dual_bitop2_b32 v10, s26, v10 bitop3:0x14
	v_cndmask_b32_e64 v3, v13, v3, s0
	s_delay_alu instid0(VALU_DEP_2) | instskip(NEXT) | instid1(VALU_DEP_2)
	v_dual_cndmask_b32 v12, v12, v11, s0 :: v_dual_mov_b32 v11, v10
	v_xor_b32_e32 v13, v3, v10
	s_delay_alu instid0(VALU_DEP_2) | instskip(NEXT) | instid1(VALU_DEP_1)
	v_xor_b32_e32 v12, v12, v10
	v_sub_nc_u64_e32 v[10:11], v[12:13], v[10:11]
                                        ; implicit-def: $vgpr12_vgpr13
.LBB21_9:                               ;   in Loop: Header=BB21_3 Depth=1
	s_and_not1_saveexec_b32 s0, s25
	s_cbranch_execz .LBB21_11
; %bb.10:                               ;   in Loop: Header=BB21_3 Depth=1
	v_cvt_f32_u32_e32 v3, s12
	s_sub_co_i32 s2, 0, s12
	s_delay_alu instid0(VALU_DEP_1) | instskip(SKIP_1) | instid1(TRANS32_DEP_1)
	v_rcp_iflag_f32_e32 v3, v3
	v_nop
	v_mul_f32_e32 v3, 0x4f7ffffe, v3
	s_delay_alu instid0(VALU_DEP_1) | instskip(NEXT) | instid1(VALU_DEP_1)
	v_cvt_u32_f32_e32 v3, v3
	v_mul_lo_u32 v10, s2, v3
	s_delay_alu instid0(VALU_DEP_1) | instskip(NEXT) | instid1(VALU_DEP_1)
	v_mul_hi_u32 v10, v3, v10
	v_add_nc_u32_e32 v3, v3, v10
	s_delay_alu instid0(VALU_DEP_1) | instskip(NEXT) | instid1(VALU_DEP_1)
	v_mul_hi_u32 v3, v12, v3
	v_mul_lo_u32 v10, v3, s12
	s_delay_alu instid0(VALU_DEP_1) | instskip(NEXT) | instid1(VALU_DEP_1)
	v_dual_add_nc_u32 v11, 1, v3 :: v_dual_sub_nc_u32 v10, v12, v10
	v_subrev_nc_u32_e32 v12, s12, v10
	v_cmp_le_u32_e32 vcc_lo, s12, v10
	s_delay_alu instid0(VALU_DEP_2) | instskip(NEXT) | instid1(VALU_DEP_1)
	v_dual_cndmask_b32 v10, v10, v12 :: v_dual_cndmask_b32 v3, v3, v11
	v_cmp_le_u32_e32 vcc_lo, s12, v10
	s_delay_alu instid0(VALU_DEP_2) | instskip(NEXT) | instid1(VALU_DEP_1)
	v_add_nc_u32_e32 v11, 1, v3
	v_dual_cndmask_b32 v10, v3, v11 :: v_dual_mov_b32 v11, v2
.LBB21_11:                              ;   in Loop: Header=BB21_3 Depth=1
	s_or_b32 exec_lo, exec_lo, s0
	s_delay_alu instid0(VALU_DEP_1) | instskip(SKIP_1) | instid1(VALU_DEP_1)
	v_or_b32_e32 v3, s11, v11
                                        ; implicit-def: $vgpr12_vgpr13
	s_mov_b32 s0, exec_lo
	v_cmpx_ne_u64_e32 0, v[2:3]
	s_xor_b32 s25, exec_lo, s0
	s_cbranch_execz .LBB21_13
; %bb.12:                               ;   in Loop: Header=BB21_3 Depth=1
	s_ashr_i32 s28, s11, 31
	v_dual_mov_b32 v19, v2 :: v_dual_ashrrev_i32 v12, 31, v11
	s_mov_b32 s29, s28
	v_mov_b32_e32 v23, v2
	s_add_nc_u64 s[30:31], s[10:11], s[28:29]
	s_delay_alu instid0(VALU_DEP_2)
	v_mov_b32_e32 v13, v12
	s_xor_b64 s[30:31], s[30:31], s[28:29]
	v_mov_b32_e32 v27, v2
	s_cvt_f32_u32 s0, s30
	s_cvt_f32_u32 s2, s31
	s_sub_nc_u64 s[36:37], 0, s[30:31]
	v_add_nc_u64_e32 v[16:17], v[10:11], v[12:13]
	s_delay_alu instid0(SALU_CYCLE_1) | instskip(NEXT) | instid1(SALU_CYCLE_3)
	s_fmamk_f32 s0, s2, 0x4f800000, s0
	v_s_rcp_f32 s0, s0
	s_delay_alu instid0(VALU_DEP_1) | instskip(NEXT) | instid1(VALU_DEP_2)
	v_xor_b32_e32 v18, v16, v12
	v_xor_b32_e32 v22, v17, v12
	s_delay_alu instid0(TRANS32_DEP_1) | instskip(NEXT) | instid1(SALU_CYCLE_3)
	s_mul_f32 s0, s0, 0x5f7ffffc
	s_mul_f32 s2, s0, 0x2f800000
	s_delay_alu instid0(SALU_CYCLE_3) | instskip(NEXT) | instid1(SALU_CYCLE_3)
	s_trunc_f32 s2, s2
	s_fmamk_f32 s0, s2, 0xcf800000, s0
	s_cvt_u32_f32 s35, s2
	s_delay_alu instid0(SALU_CYCLE_2) | instskip(NEXT) | instid1(SALU_CYCLE_3)
	s_cvt_u32_f32 s34, s0
	s_mul_u64 s[38:39], s[36:37], s[34:35]
	s_delay_alu instid0(SALU_CYCLE_1)
	s_mul_hi_u32 s41, s34, s39
	s_mul_i32 s40, s34, s39
	s_mul_hi_u32 s2, s34, s38
	s_mul_i32 s27, s35, s38
	s_add_nc_u64 s[40:41], s[2:3], s[40:41]
	s_mul_hi_u32 s0, s35, s38
	s_mul_hi_u32 s29, s35, s39
	s_add_co_u32 s2, s40, s27
	s_add_co_ci_u32 s2, s41, s0
	s_mul_i32 s38, s35, s39
	s_add_co_ci_u32 s39, s29, 0
	s_delay_alu instid0(SALU_CYCLE_1) | instskip(NEXT) | instid1(SALU_CYCLE_1)
	s_add_nc_u64 s[38:39], s[2:3], s[38:39]
	s_add_co_u32 s34, s34, s38
	s_cselect_b32 s0, -1, 0
	s_delay_alu instid0(SALU_CYCLE_1) | instskip(SKIP_1) | instid1(SALU_CYCLE_1)
	s_cmp_lg_u32 s0, 0
	s_add_co_ci_u32 s35, s35, s39
	s_mul_u64 s[36:37], s[36:37], s[34:35]
	s_delay_alu instid0(SALU_CYCLE_1)
	s_mul_hi_u32 s39, s34, s37
	s_mul_i32 s38, s34, s37
	s_mul_hi_u32 s2, s34, s36
	s_mul_i32 s27, s35, s36
	s_add_nc_u64 s[38:39], s[2:3], s[38:39]
	s_mul_hi_u32 s0, s35, s36
	s_mul_hi_u32 s29, s35, s37
	s_add_co_u32 s2, s38, s27
	s_add_co_ci_u32 s2, s39, s0
	s_mul_i32 s36, s35, s37
	s_add_co_ci_u32 s37, s29, 0
	s_delay_alu instid0(SALU_CYCLE_1) | instskip(NEXT) | instid1(SALU_CYCLE_1)
	s_add_nc_u64 s[36:37], s[2:3], s[36:37]
	s_add_co_u32 s0, s34, s36
	s_cselect_b32 s2, -1, 0
	v_mul_hi_u32 v26, v18, s0
	s_cmp_lg_u32 s2, 0
	s_add_co_ci_u32 s2, s35, s37
	s_and_b64 s[34:35], s[0:1], s[6:7]
	v_mul_u64_e32 v[20:21], s[2:3], v[18:19]
	v_mul_u64_e32 v[16:17], s[34:35], v[22:23]
	v_mul_u64_e32 v[24:25], s[2:3], v[22:23]
	s_delay_alu instid0(VALU_DEP_3) | instskip(NEXT) | instid1(VALU_DEP_1)
	v_add_nc_u64_e32 v[20:21], v[26:27], v[20:21]
	v_add_co_u32 v3, vcc_lo, v20, v16
	s_delay_alu instid0(VALU_DEP_2) | instskip(NEXT) | instid1(VALU_DEP_4)
	v_add_co_ci_u32_e32 v26, vcc_lo, v21, v17, vcc_lo
	v_add_co_ci_u32_e32 v25, vcc_lo, 0, v25, vcc_lo
	s_delay_alu instid0(VALU_DEP_1) | instskip(NEXT) | instid1(VALU_DEP_1)
	v_add_nc_u64_e32 v[16:17], v[26:27], v[24:25]
	v_mul_u64_e32 v[20:21], s[30:31], v[16:17]
	s_delay_alu instid0(VALU_DEP_1) | instskip(NEXT) | instid1(VALU_DEP_2)
	v_sub_nc_u32_e32 v3, v22, v21
	v_sub_co_u32 v11, vcc_lo, v18, v20
	s_delay_alu instid0(VALU_DEP_1) | instskip(NEXT) | instid1(VALU_DEP_3)
	v_sub_co_ci_u32_e64 v15, null, v22, v21, vcc_lo
	v_subrev_co_ci_u32_e64 v3, null, s31, v3, vcc_lo
	s_delay_alu instid0(VALU_DEP_3) | instskip(SKIP_1) | instid1(VALU_DEP_3)
	v_sub_co_u32 v13, s0, v11, s30
	v_add_nc_u64_e32 v[20:21], 1, v[16:17]
	v_subrev_co_ci_u32_e64 v3, null, 0, v3, s0
	s_delay_alu instid0(VALU_DEP_3) | instskip(SKIP_1) | instid1(VALU_DEP_3)
	v_cmp_le_u32_e32 vcc_lo, s30, v13
	v_cndmask_b32_e64 v13, 0, -1, vcc_lo
	v_cmp_le_u32_e32 vcc_lo, s31, v3
	v_cndmask_b32_e64 v18, 0, -1, vcc_lo
	;; [unrolled: 2-line block ×4, first 2 shown]
	v_cmp_eq_u32_e32 vcc_lo, s31, v3
	v_cndmask_b32_e32 v3, v18, v13, vcc_lo
	v_cmp_eq_u32_e32 vcc_lo, s31, v15
	v_add_nc_u64_e32 v[18:19], 2, v[16:17]
	v_cndmask_b32_e32 v11, v22, v11, vcc_lo
	s_delay_alu instid0(VALU_DEP_4) | instskip(NEXT) | instid1(VALU_DEP_2)
	v_cmp_ne_u32_e32 vcc_lo, 0, v3
	v_cmp_ne_u32_e64 s0, 0, v11
	s_delay_alu instid0(VALU_DEP_4) | instskip(NEXT) | instid1(VALU_DEP_1)
	v_dual_cndmask_b32 v3, v21, v19, vcc_lo :: v_dual_cndmask_b32 v11, v20, v18, vcc_lo
	v_dual_cndmask_b32 v3, v17, v3, s0 :: v_dual_bitop2_b32 v12, s28, v12 bitop3:0x14
	s_delay_alu instid0(VALU_DEP_1) | instskip(NEXT) | instid1(VALU_DEP_1)
	v_dual_cndmask_b32 v11, v16, v11, s0 :: v_dual_bitop2_b32 v17, v3, v12 bitop3:0x14
	v_dual_mov_b32 v13, v12 :: v_dual_bitop2_b32 v16, v11, v12 bitop3:0x14
	s_delay_alu instid0(VALU_DEP_1)
	v_sub_nc_u64_e32 v[12:13], v[16:17], v[12:13]
.LBB21_13:                              ;   in Loop: Header=BB21_3 Depth=1
	s_and_not1_saveexec_b32 s0, s25
	s_cbranch_execz .LBB21_2
; %bb.14:                               ;   in Loop: Header=BB21_3 Depth=1
	v_cvt_f32_u32_e32 v3, s10
	s_sub_co_i32 s2, 0, s10
	s_delay_alu instid0(VALU_DEP_1) | instskip(SKIP_1) | instid1(TRANS32_DEP_1)
	v_rcp_iflag_f32_e32 v3, v3
	v_nop
	v_mul_f32_e32 v3, 0x4f7ffffe, v3
	s_delay_alu instid0(VALU_DEP_1) | instskip(NEXT) | instid1(VALU_DEP_1)
	v_cvt_u32_f32_e32 v3, v3
	v_mul_lo_u32 v11, s2, v3
	s_delay_alu instid0(VALU_DEP_1) | instskip(NEXT) | instid1(VALU_DEP_1)
	v_mul_hi_u32 v11, v3, v11
	v_add_nc_u32_e32 v3, v3, v11
	s_delay_alu instid0(VALU_DEP_1) | instskip(NEXT) | instid1(VALU_DEP_1)
	v_mul_hi_u32 v3, v10, v3
	v_mul_lo_u32 v11, v3, s10
	s_delay_alu instid0(VALU_DEP_1) | instskip(NEXT) | instid1(VALU_DEP_1)
	v_sub_nc_u32_e32 v11, v10, v11
	v_subrev_nc_u32_e32 v13, s10, v11
	v_cmp_le_u32_e32 vcc_lo, s10, v11
	s_delay_alu instid0(VALU_DEP_2) | instskip(NEXT) | instid1(VALU_DEP_1)
	v_dual_cndmask_b32 v11, v11, v13 :: v_dual_add_nc_u32 v12, 1, v3
	v_cndmask_b32_e32 v3, v3, v12, vcc_lo
	s_delay_alu instid0(VALU_DEP_2) | instskip(NEXT) | instid1(VALU_DEP_2)
	v_cmp_le_u32_e32 vcc_lo, s10, v11
	v_add_nc_u32_e32 v12, 1, v3
	s_delay_alu instid0(VALU_DEP_1)
	v_cndmask_b32_e32 v12, v3, v12, vcc_lo
	s_branch .LBB21_2
.LBB21_15:
	s_endpgm
	.section	.rodata,"a",@progbits
	.p2align	6, 0x0
	.amdhsa_kernel _ZN2at6native31max_unpooling2d_backward_kernelIlEEvlPKT_PKllllllPS2_
		.amdhsa_group_segment_fixed_size 0
		.amdhsa_private_segment_fixed_size 0
		.amdhsa_kernarg_size 328
		.amdhsa_user_sgpr_count 2
		.amdhsa_user_sgpr_dispatch_ptr 0
		.amdhsa_user_sgpr_queue_ptr 0
		.amdhsa_user_sgpr_kernarg_segment_ptr 1
		.amdhsa_user_sgpr_dispatch_id 0
		.amdhsa_user_sgpr_kernarg_preload_length 0
		.amdhsa_user_sgpr_kernarg_preload_offset 0
		.amdhsa_user_sgpr_private_segment_size 0
		.amdhsa_wavefront_size32 1
		.amdhsa_uses_dynamic_stack 0
		.amdhsa_enable_private_segment 0
		.amdhsa_system_sgpr_workgroup_id_x 1
		.amdhsa_system_sgpr_workgroup_id_y 0
		.amdhsa_system_sgpr_workgroup_id_z 0
		.amdhsa_system_sgpr_workgroup_info 0
		.amdhsa_system_vgpr_workitem_id 0
		.amdhsa_next_free_vgpr 28
		.amdhsa_next_free_sgpr 42
		.amdhsa_named_barrier_count 0
		.amdhsa_reserve_vcc 1
		.amdhsa_float_round_mode_32 0
		.amdhsa_float_round_mode_16_64 0
		.amdhsa_float_denorm_mode_32 3
		.amdhsa_float_denorm_mode_16_64 3
		.amdhsa_fp16_overflow 0
		.amdhsa_memory_ordered 1
		.amdhsa_forward_progress 1
		.amdhsa_inst_pref_size 21
		.amdhsa_round_robin_scheduling 0
		.amdhsa_exception_fp_ieee_invalid_op 0
		.amdhsa_exception_fp_denorm_src 0
		.amdhsa_exception_fp_ieee_div_zero 0
		.amdhsa_exception_fp_ieee_overflow 0
		.amdhsa_exception_fp_ieee_underflow 0
		.amdhsa_exception_fp_ieee_inexact 0
		.amdhsa_exception_int_div_zero 0
	.end_amdhsa_kernel
	.section	.text._ZN2at6native31max_unpooling2d_backward_kernelIlEEvlPKT_PKllllllPS2_,"axG",@progbits,_ZN2at6native31max_unpooling2d_backward_kernelIlEEvlPKT_PKllllllPS2_,comdat
.Lfunc_end21:
	.size	_ZN2at6native31max_unpooling2d_backward_kernelIlEEvlPKT_PKllllllPS2_, .Lfunc_end21-_ZN2at6native31max_unpooling2d_backward_kernelIlEEvlPKT_PKllllllPS2_
                                        ; -- End function
	.set _ZN2at6native31max_unpooling2d_backward_kernelIlEEvlPKT_PKllllllPS2_.num_vgpr, 28
	.set _ZN2at6native31max_unpooling2d_backward_kernelIlEEvlPKT_PKllllllPS2_.num_agpr, 0
	.set _ZN2at6native31max_unpooling2d_backward_kernelIlEEvlPKT_PKllllllPS2_.numbered_sgpr, 42
	.set _ZN2at6native31max_unpooling2d_backward_kernelIlEEvlPKT_PKllllllPS2_.num_named_barrier, 0
	.set _ZN2at6native31max_unpooling2d_backward_kernelIlEEvlPKT_PKllllllPS2_.private_seg_size, 0
	.set _ZN2at6native31max_unpooling2d_backward_kernelIlEEvlPKT_PKllllllPS2_.uses_vcc, 1
	.set _ZN2at6native31max_unpooling2d_backward_kernelIlEEvlPKT_PKllllllPS2_.uses_flat_scratch, 0
	.set _ZN2at6native31max_unpooling2d_backward_kernelIlEEvlPKT_PKllllllPS2_.has_dyn_sized_stack, 0
	.set _ZN2at6native31max_unpooling2d_backward_kernelIlEEvlPKT_PKllllllPS2_.has_recursion, 0
	.set _ZN2at6native31max_unpooling2d_backward_kernelIlEEvlPKT_PKllllllPS2_.has_indirect_call, 0
	.section	.AMDGPU.csdata,"",@progbits
; Kernel info:
; codeLenInByte = 2592
; TotalNumSgprs: 44
; NumVgprs: 28
; ScratchSize: 0
; MemoryBound: 0
; FloatMode: 240
; IeeeMode: 1
; LDSByteSize: 0 bytes/workgroup (compile time only)
; SGPRBlocks: 0
; VGPRBlocks: 1
; NumSGPRsForWavesPerEU: 44
; NumVGPRsForWavesPerEU: 28
; NamedBarCnt: 0
; Occupancy: 16
; WaveLimiterHint : 1
; COMPUTE_PGM_RSRC2:SCRATCH_EN: 0
; COMPUTE_PGM_RSRC2:USER_SGPR: 2
; COMPUTE_PGM_RSRC2:TRAP_HANDLER: 0
; COMPUTE_PGM_RSRC2:TGID_X_EN: 1
; COMPUTE_PGM_RSRC2:TGID_Y_EN: 0
; COMPUTE_PGM_RSRC2:TGID_Z_EN: 0
; COMPUTE_PGM_RSRC2:TIDIG_COMP_CNT: 0
	.section	.text._ZN2at6native31max_unpooling2d_backward_kernelIsEEvlPKT_PKllllllPS2_,"axG",@progbits,_ZN2at6native31max_unpooling2d_backward_kernelIsEEvlPKT_PKllllllPS2_,comdat
	.protected	_ZN2at6native31max_unpooling2d_backward_kernelIsEEvlPKT_PKllllllPS2_ ; -- Begin function _ZN2at6native31max_unpooling2d_backward_kernelIsEEvlPKT_PKllllllPS2_
	.globl	_ZN2at6native31max_unpooling2d_backward_kernelIsEEvlPKT_PKllllllPS2_
	.p2align	8
	.type	_ZN2at6native31max_unpooling2d_backward_kernelIsEEvlPKT_PKllllllPS2_,@function
_ZN2at6native31max_unpooling2d_backward_kernelIsEEvlPKT_PKllllllPS2_: ; @_ZN2at6native31max_unpooling2d_backward_kernelIsEEvlPKT_PKllllllPS2_
; %bb.0:
	s_load_b32 s2, s[0:1], 0x54
	s_bfe_u32 s4, ttmp6, 0x4000c
	v_mov_b32_e32 v2, 0
	s_add_co_i32 s21, s4, 1
	s_load_b512 s[4:19], s[0:1], 0x0
	s_and_b32 s3, ttmp6, 15
	s_mul_i32 s21, ttmp9, s21
	s_getreg_b32 s20, hwreg(HW_REG_IB_STS2, 6, 4)
	v_mov_b32_e32 v1, v2
	s_add_co_i32 s3, s3, s21
	s_wait_kmcnt 0x0
	s_and_b32 s2, s2, 0xffff
	s_cmp_eq_u32 s20, 0
	s_mov_b32 s20, exec_lo
	s_cselect_b32 s3, ttmp9, s3
	s_delay_alu instid0(SALU_CYCLE_1) | instskip(SKIP_1) | instid1(VALU_DEP_1)
	v_mad_nc_u64_u32 v[0:1], s2, s3, v[0:1]
	s_mov_b32 s3, 0
	v_cmpx_gt_i64_e64 s[4:5], v[0:1]
	s_cbranch_execz .LBB22_15
; %bb.1:
	v_cvt_f32_u32_e32 v3, s14
	s_sub_co_i32 s22, 0, s14
	s_add_nc_u64 s[20:21], s[0:1], 0x48
	v_mov_b64_e32 v[4:5], s[6:7]
	s_load_b32 s23, s[20:21], 0x0
	v_rcp_iflag_f32_e32 v3, v3
	s_wait_xcnt 0x0
	s_load_b64 s[20:21], s[0:1], 0x40
	s_mul_u64 s[16:17], s[18:19], s[16:17]
	s_mov_b32 s19, s3
	s_mov_b64 s[6:7], 0xffffffff
	s_ashr_i32 s24, s15, 31
	s_ashr_i32 s26, s13, 31
	v_nop
	v_mul_f32_e32 v3, 0x4f7ffffe, v3
	s_wait_xcnt 0x0
	s_mov_b32 s1, 0
	s_delay_alu instid0(VALU_DEP_1) | instskip(NEXT) | instid1(VALU_DEP_1)
	v_cvt_u32_f32_e32 v6, v3
	v_mul_lo_u32 v3, s22, v6
	s_mov_b32 s22, s3
	s_wait_kmcnt 0x0
	s_mul_i32 s18, s23, s2
	s_delay_alu instid0(SALU_CYCLE_1) | instskip(NEXT) | instid1(VALU_DEP_1)
	s_mov_b32 s23, s18
	v_mul_hi_u32 v7, v6, v3
	s_delay_alu instid0(VALU_DEP_1) | instskip(NEXT) | instid1(VALU_DEP_1)
	v_dual_mov_b32 v3, v0 :: v_dual_add_nc_u32 v14, v6, v7
	v_mov_b64_e32 v[6:7], v[2:3]
	s_branch .LBB22_3
.LBB22_2:                               ;   in Loop: Header=BB22_3 Depth=1
	s_or_b32 exec_lo, exec_lo, s0
	v_lshl_add_u64 v[16:17], v[8:9], 3, s[8:9]
	s_delay_alu instid0(VALU_DEP_2)
	v_mul_lo_u32 v11, v12, s10
	v_add_nc_u64_e32 v[0:1], s[18:19], v[0:1]
	v_add_nc_u64_e32 v[6:7], s[22:23], v[6:7]
	v_lshl_add_u64 v[8:9], v[8:9], 1, s[20:21]
	global_load_b32 v3, v[16:17], off
	v_ashrrev_i32_e32 v13, 31, v12
	v_cmp_le_i64_e32 vcc_lo, s[4:5], v[0:1]
	v_sub_nc_u32_e32 v10, v10, v11
	s_or_b32 s1, vcc_lo, s1
	s_delay_alu instid0(VALU_DEP_1) | instskip(NEXT) | instid1(VALU_DEP_1)
	v_ashrrev_i32_e32 v11, 31, v10
	v_mad_nc_u64_u32 v[10:11], v12, s10, v[10:11]
	s_delay_alu instid0(VALU_DEP_1) | instskip(NEXT) | instid1(VALU_DEP_1)
	v_mad_u32 v11, v13, s10, v11
	v_mad_u32 v11, v12, s11, v11
	s_delay_alu instid0(VALU_DEP_1) | instskip(NEXT) | instid1(VALU_DEP_1)
	v_mul_u64_e32 v[10:11], s[16:17], v[10:11]
	v_lshl_add_u64 v[4:5], v[10:11], 1, v[4:5]
	s_wait_loadcnt 0x0
	v_ashrrev_i64 v[12:13], 31, v[2:3]
	s_delay_alu instid0(VALU_DEP_1)
	v_add_nc_u64_e32 v[10:11], v[4:5], v[12:13]
	global_load_u16 v3, v[10:11], off
	s_wait_loadcnt 0x0
	global_store_b16 v[8:9], v3, off
	s_wait_xcnt 0x0
	s_and_not1_b32 exec_lo, exec_lo, s1
	s_cbranch_execz .LBB22_15
.LBB22_3:                               ; =>This Inner Loop Header: Depth=1
	s_delay_alu instid0(VALU_DEP_1) | instskip(SKIP_1) | instid1(VALU_DEP_1)
	v_dual_mov_b32 v8, v7 :: v_dual_ashrrev_i32 v9, 31, v7
                                        ; implicit-def: $vgpr12_vgpr13
	s_mov_b32 s0, exec_lo
	v_or_b32_e32 v3, s15, v9
	s_delay_alu instid0(VALU_DEP_1)
	v_cmpx_ne_u64_e32 0, v[2:3]
	s_xor_b32 s27, exec_lo, s0
	s_cbranch_execz .LBB22_5
; %bb.4:                                ;   in Loop: Header=BB22_3 Depth=1
	s_mov_b32 s25, s24
	v_dual_mov_b32 v17, v2 :: v_dual_ashrrev_i32 v10, 31, v9
	s_add_nc_u64 s[28:29], s[14:15], s[24:25]
	s_delay_alu instid0(SALU_CYCLE_1) | instskip(NEXT) | instid1(VALU_DEP_1)
	s_xor_b64 s[28:29], s[28:29], s[24:25]
	v_mov_b32_e32 v11, v10
	s_cvt_f32_u32 s0, s28
	s_cvt_f32_u32 s2, s29
	s_sub_nc_u64 s[34:35], 0, s[28:29]
	s_delay_alu instid0(VALU_DEP_1) | instskip(NEXT) | instid1(SALU_CYCLE_1)
	v_add_nc_u64_e32 v[12:13], v[8:9], v[10:11]
	s_fmamk_f32 s0, s2, 0x4f800000, s0
	v_mov_b32_e32 v21, v2
	s_delay_alu instid0(SALU_CYCLE_2) | instskip(NEXT) | instid1(VALU_DEP_2)
	v_s_rcp_f32 s0, s0
	v_xor_b32_e32 v16, v12, v10
	s_delay_alu instid0(VALU_DEP_3) | instskip(NEXT) | instid1(TRANS32_DEP_1)
	v_dual_mov_b32 v25, v2 :: v_dual_bitop2_b32 v20, v13, v10 bitop3:0x14
	s_mul_f32 s0, s0, 0x5f7ffffc
	s_delay_alu instid0(SALU_CYCLE_3) | instskip(NEXT) | instid1(SALU_CYCLE_3)
	s_mul_f32 s2, s0, 0x2f800000
	s_trunc_f32 s2, s2
	s_delay_alu instid0(SALU_CYCLE_3) | instskip(SKIP_1) | instid1(SALU_CYCLE_2)
	s_fmamk_f32 s0, s2, 0xcf800000, s0
	s_cvt_u32_f32 s31, s2
	s_cvt_u32_f32 s30, s0
	s_delay_alu instid0(SALU_CYCLE_3) | instskip(NEXT) | instid1(SALU_CYCLE_1)
	s_mul_u64 s[36:37], s[34:35], s[30:31]
	s_mul_hi_u32 s39, s30, s37
	s_mul_i32 s38, s30, s37
	s_mul_hi_u32 s2, s30, s36
	s_mul_i32 s25, s31, s36
	s_add_nc_u64 s[38:39], s[2:3], s[38:39]
	s_mul_hi_u32 s0, s31, s36
	s_mul_hi_u32 s33, s31, s37
	s_add_co_u32 s2, s38, s25
	s_add_co_ci_u32 s2, s39, s0
	s_mul_i32 s36, s31, s37
	s_add_co_ci_u32 s37, s33, 0
	s_delay_alu instid0(SALU_CYCLE_1) | instskip(NEXT) | instid1(SALU_CYCLE_1)
	s_add_nc_u64 s[36:37], s[2:3], s[36:37]
	s_add_co_u32 s30, s30, s36
	s_cselect_b32 s0, -1, 0
	s_delay_alu instid0(SALU_CYCLE_1) | instskip(SKIP_1) | instid1(SALU_CYCLE_1)
	s_cmp_lg_u32 s0, 0
	s_add_co_ci_u32 s31, s31, s37
	s_mul_u64 s[34:35], s[34:35], s[30:31]
	s_delay_alu instid0(SALU_CYCLE_1)
	s_mul_hi_u32 s37, s30, s35
	s_mul_i32 s36, s30, s35
	s_mul_hi_u32 s2, s30, s34
	s_mul_i32 s25, s31, s34
	s_add_nc_u64 s[36:37], s[2:3], s[36:37]
	s_mul_hi_u32 s0, s31, s34
	s_mul_hi_u32 s33, s31, s35
	s_add_co_u32 s2, s36, s25
	s_add_co_ci_u32 s2, s37, s0
	s_mul_i32 s34, s31, s35
	s_add_co_ci_u32 s35, s33, 0
	s_delay_alu instid0(SALU_CYCLE_1) | instskip(NEXT) | instid1(SALU_CYCLE_1)
	s_add_nc_u64 s[34:35], s[2:3], s[34:35]
	s_add_co_u32 s0, s30, s34
	s_cselect_b32 s2, -1, 0
	v_mul_hi_u32 v24, v16, s0
	s_cmp_lg_u32 s2, 0
	s_add_co_ci_u32 s2, s31, s35
	s_and_b64 s[30:31], s[0:1], s[6:7]
	v_mul_u64_e32 v[18:19], s[2:3], v[16:17]
	v_mul_u64_e32 v[12:13], s[30:31], v[20:21]
	;; [unrolled: 1-line block ×3, first 2 shown]
	s_delay_alu instid0(VALU_DEP_3) | instskip(NEXT) | instid1(VALU_DEP_1)
	v_add_nc_u64_e32 v[18:19], v[24:25], v[18:19]
	v_add_co_u32 v3, vcc_lo, v18, v12
	s_delay_alu instid0(VALU_DEP_2) | instskip(NEXT) | instid1(VALU_DEP_4)
	v_add_co_ci_u32_e32 v24, vcc_lo, v19, v13, vcc_lo
	v_add_co_ci_u32_e32 v23, vcc_lo, 0, v23, vcc_lo
	s_delay_alu instid0(VALU_DEP_1) | instskip(NEXT) | instid1(VALU_DEP_1)
	v_add_nc_u64_e32 v[12:13], v[24:25], v[22:23]
	v_mul_u64_e32 v[18:19], s[28:29], v[12:13]
	s_delay_alu instid0(VALU_DEP_1) | instskip(NEXT) | instid1(VALU_DEP_2)
	v_sub_nc_u32_e32 v3, v20, v19
	v_sub_co_u32 v11, vcc_lo, v16, v18
	s_delay_alu instid0(VALU_DEP_1) | instskip(NEXT) | instid1(VALU_DEP_3)
	v_sub_co_ci_u32_e64 v20, null, v20, v19, vcc_lo
	v_subrev_co_ci_u32_e64 v3, null, s29, v3, vcc_lo
	s_delay_alu instid0(VALU_DEP_3) | instskip(SKIP_1) | instid1(VALU_DEP_3)
	v_sub_co_u32 v15, s0, v11, s28
	v_add_nc_u64_e32 v[18:19], 1, v[12:13]
	v_subrev_co_ci_u32_e64 v3, null, 0, v3, s0
	s_delay_alu instid0(VALU_DEP_3) | instskip(SKIP_1) | instid1(VALU_DEP_3)
	v_cmp_le_u32_e32 vcc_lo, s28, v15
	v_cndmask_b32_e64 v15, 0, -1, vcc_lo
	v_cmp_le_u32_e32 vcc_lo, s29, v3
	v_cndmask_b32_e64 v16, 0, -1, vcc_lo
	;; [unrolled: 2-line block ×4, first 2 shown]
	v_cmp_eq_u32_e32 vcc_lo, s29, v3
	v_cndmask_b32_e32 v3, v16, v15, vcc_lo
	v_cmp_eq_u32_e32 vcc_lo, s29, v20
	v_add_nc_u64_e32 v[16:17], 2, v[12:13]
	v_cndmask_b32_e32 v11, v21, v11, vcc_lo
	s_delay_alu instid0(VALU_DEP_4) | instskip(NEXT) | instid1(VALU_DEP_3)
	v_cmp_ne_u32_e32 vcc_lo, 0, v3
	v_cndmask_b32_e32 v3, v19, v17, vcc_lo
	s_delay_alu instid0(VALU_DEP_3) | instskip(SKIP_1) | instid1(VALU_DEP_2)
	v_cmp_ne_u32_e64 s0, 0, v11
	v_dual_cndmask_b32 v11, v18, v16, vcc_lo :: v_dual_bitop2_b32 v10, s24, v10 bitop3:0x14
	v_cndmask_b32_e64 v3, v13, v3, s0
	s_delay_alu instid0(VALU_DEP_2) | instskip(NEXT) | instid1(VALU_DEP_2)
	v_dual_cndmask_b32 v12, v12, v11, s0 :: v_dual_mov_b32 v11, v10
	v_xor_b32_e32 v13, v3, v10
	s_delay_alu instid0(VALU_DEP_2) | instskip(NEXT) | instid1(VALU_DEP_1)
	v_xor_b32_e32 v12, v12, v10
	v_sub_nc_u64_e32 v[12:13], v[12:13], v[10:11]
.LBB22_5:                               ;   in Loop: Header=BB22_3 Depth=1
	s_and_not1_saveexec_b32 s0, s27
	s_cbranch_execz .LBB22_7
; %bb.6:                                ;   in Loop: Header=BB22_3 Depth=1
	v_mul_hi_u32 v3, v7, v14
	v_mov_b32_e32 v13, v2
	s_delay_alu instid0(VALU_DEP_2) | instskip(NEXT) | instid1(VALU_DEP_1)
	v_mul_lo_u32 v10, v3, s14
	v_dual_add_nc_u32 v11, 1, v3 :: v_dual_sub_nc_u32 v10, v7, v10
	s_delay_alu instid0(VALU_DEP_1) | instskip(SKIP_1) | instid1(VALU_DEP_2)
	v_subrev_nc_u32_e32 v12, s14, v10
	v_cmp_le_u32_e32 vcc_lo, s14, v10
	v_dual_cndmask_b32 v10, v10, v12 :: v_dual_cndmask_b32 v3, v3, v11
	s_delay_alu instid0(VALU_DEP_1) | instskip(NEXT) | instid1(VALU_DEP_2)
	v_cmp_le_u32_e32 vcc_lo, s14, v10
	v_add_nc_u32_e32 v11, 1, v3
	s_delay_alu instid0(VALU_DEP_1)
	v_cndmask_b32_e32 v12, v3, v11, vcc_lo
.LBB22_7:                               ;   in Loop: Header=BB22_3 Depth=1
	s_or_b32 exec_lo, exec_lo, s0
	s_delay_alu instid0(VALU_DEP_1) | instskip(SKIP_1) | instid1(VALU_DEP_1)
	v_or_b32_e32 v3, s13, v13
                                        ; implicit-def: $vgpr10_vgpr11
	s_mov_b32 s0, exec_lo
	v_cmpx_ne_u64_e32 0, v[2:3]
	s_xor_b32 s25, exec_lo, s0
	s_cbranch_execz .LBB22_9
; %bb.8:                                ;   in Loop: Header=BB22_3 Depth=1
	s_mov_b32 s27, s26
	v_dual_mov_b32 v17, v2 :: v_dual_ashrrev_i32 v10, 31, v13
	s_add_nc_u64 s[28:29], s[12:13], s[26:27]
	s_delay_alu instid0(SALU_CYCLE_1) | instskip(NEXT) | instid1(VALU_DEP_1)
	s_xor_b64 s[28:29], s[28:29], s[26:27]
	v_mov_b32_e32 v11, v10
	s_cvt_f32_u32 s0, s28
	s_cvt_f32_u32 s2, s29
	s_sub_nc_u64 s[34:35], 0, s[28:29]
	s_delay_alu instid0(VALU_DEP_1) | instskip(NEXT) | instid1(SALU_CYCLE_1)
	v_add_nc_u64_e32 v[12:13], v[12:13], v[10:11]
	s_fmamk_f32 s0, s2, 0x4f800000, s0
	v_mov_b32_e32 v21, v2
	s_delay_alu instid0(SALU_CYCLE_2) | instskip(NEXT) | instid1(VALU_DEP_2)
	v_s_rcp_f32 s0, s0
	v_xor_b32_e32 v16, v12, v10
	s_delay_alu instid0(VALU_DEP_3) | instskip(NEXT) | instid1(TRANS32_DEP_1)
	v_dual_mov_b32 v25, v2 :: v_dual_bitop2_b32 v20, v13, v10 bitop3:0x14
	s_mul_f32 s0, s0, 0x5f7ffffc
	s_delay_alu instid0(SALU_CYCLE_3) | instskip(NEXT) | instid1(SALU_CYCLE_3)
	s_mul_f32 s2, s0, 0x2f800000
	s_trunc_f32 s2, s2
	s_delay_alu instid0(SALU_CYCLE_3) | instskip(SKIP_1) | instid1(SALU_CYCLE_2)
	s_fmamk_f32 s0, s2, 0xcf800000, s0
	s_cvt_u32_f32 s31, s2
	s_cvt_u32_f32 s30, s0
	s_delay_alu instid0(SALU_CYCLE_3) | instskip(NEXT) | instid1(SALU_CYCLE_1)
	s_mul_u64 s[36:37], s[34:35], s[30:31]
	s_mul_hi_u32 s39, s30, s37
	s_mul_i32 s38, s30, s37
	s_mul_hi_u32 s2, s30, s36
	s_mul_i32 s27, s31, s36
	s_add_nc_u64 s[38:39], s[2:3], s[38:39]
	s_mul_hi_u32 s0, s31, s36
	s_mul_hi_u32 s33, s31, s37
	s_add_co_u32 s2, s38, s27
	s_add_co_ci_u32 s2, s39, s0
	s_mul_i32 s36, s31, s37
	s_add_co_ci_u32 s37, s33, 0
	s_delay_alu instid0(SALU_CYCLE_1) | instskip(NEXT) | instid1(SALU_CYCLE_1)
	s_add_nc_u64 s[36:37], s[2:3], s[36:37]
	s_add_co_u32 s30, s30, s36
	s_cselect_b32 s0, -1, 0
	s_delay_alu instid0(SALU_CYCLE_1) | instskip(SKIP_1) | instid1(SALU_CYCLE_1)
	s_cmp_lg_u32 s0, 0
	s_add_co_ci_u32 s31, s31, s37
	s_mul_u64 s[34:35], s[34:35], s[30:31]
	s_delay_alu instid0(SALU_CYCLE_1)
	s_mul_hi_u32 s37, s30, s35
	s_mul_i32 s36, s30, s35
	s_mul_hi_u32 s2, s30, s34
	s_mul_i32 s27, s31, s34
	s_add_nc_u64 s[36:37], s[2:3], s[36:37]
	s_mul_hi_u32 s0, s31, s34
	s_mul_hi_u32 s33, s31, s35
	s_add_co_u32 s2, s36, s27
	s_add_co_ci_u32 s2, s37, s0
	s_mul_i32 s34, s31, s35
	s_add_co_ci_u32 s35, s33, 0
	s_delay_alu instid0(SALU_CYCLE_1) | instskip(NEXT) | instid1(SALU_CYCLE_1)
	s_add_nc_u64 s[34:35], s[2:3], s[34:35]
	s_add_co_u32 s0, s30, s34
	s_cselect_b32 s2, -1, 0
	v_mul_hi_u32 v24, v16, s0
	s_cmp_lg_u32 s2, 0
	s_add_co_ci_u32 s2, s31, s35
	s_and_b64 s[30:31], s[0:1], s[6:7]
	v_mul_u64_e32 v[18:19], s[2:3], v[16:17]
	v_mul_u64_e32 v[12:13], s[30:31], v[20:21]
	;; [unrolled: 1-line block ×3, first 2 shown]
	s_delay_alu instid0(VALU_DEP_3) | instskip(NEXT) | instid1(VALU_DEP_1)
	v_add_nc_u64_e32 v[18:19], v[24:25], v[18:19]
	v_add_co_u32 v3, vcc_lo, v18, v12
	s_delay_alu instid0(VALU_DEP_2) | instskip(NEXT) | instid1(VALU_DEP_4)
	v_add_co_ci_u32_e32 v24, vcc_lo, v19, v13, vcc_lo
	v_add_co_ci_u32_e32 v23, vcc_lo, 0, v23, vcc_lo
	s_delay_alu instid0(VALU_DEP_1) | instskip(NEXT) | instid1(VALU_DEP_1)
	v_add_nc_u64_e32 v[12:13], v[24:25], v[22:23]
	v_mul_u64_e32 v[18:19], s[28:29], v[12:13]
	s_delay_alu instid0(VALU_DEP_1) | instskip(NEXT) | instid1(VALU_DEP_2)
	v_sub_nc_u32_e32 v3, v20, v19
	v_sub_co_u32 v11, vcc_lo, v16, v18
	s_delay_alu instid0(VALU_DEP_1) | instskip(NEXT) | instid1(VALU_DEP_3)
	v_sub_co_ci_u32_e64 v20, null, v20, v19, vcc_lo
	v_subrev_co_ci_u32_e64 v3, null, s29, v3, vcc_lo
	s_delay_alu instid0(VALU_DEP_3) | instskip(SKIP_1) | instid1(VALU_DEP_3)
	v_sub_co_u32 v15, s0, v11, s28
	v_add_nc_u64_e32 v[18:19], 1, v[12:13]
	v_subrev_co_ci_u32_e64 v3, null, 0, v3, s0
	s_delay_alu instid0(VALU_DEP_3) | instskip(SKIP_1) | instid1(VALU_DEP_3)
	v_cmp_le_u32_e32 vcc_lo, s28, v15
	v_cndmask_b32_e64 v15, 0, -1, vcc_lo
	v_cmp_le_u32_e32 vcc_lo, s29, v3
	v_cndmask_b32_e64 v16, 0, -1, vcc_lo
	;; [unrolled: 2-line block ×4, first 2 shown]
	v_cmp_eq_u32_e32 vcc_lo, s29, v3
	v_cndmask_b32_e32 v3, v16, v15, vcc_lo
	v_cmp_eq_u32_e32 vcc_lo, s29, v20
	v_add_nc_u64_e32 v[16:17], 2, v[12:13]
	v_cndmask_b32_e32 v11, v21, v11, vcc_lo
	s_delay_alu instid0(VALU_DEP_4) | instskip(NEXT) | instid1(VALU_DEP_3)
	v_cmp_ne_u32_e32 vcc_lo, 0, v3
	v_cndmask_b32_e32 v3, v19, v17, vcc_lo
	s_delay_alu instid0(VALU_DEP_3) | instskip(SKIP_1) | instid1(VALU_DEP_2)
	v_cmp_ne_u32_e64 s0, 0, v11
	v_dual_cndmask_b32 v11, v18, v16, vcc_lo :: v_dual_bitop2_b32 v10, s26, v10 bitop3:0x14
	v_cndmask_b32_e64 v3, v13, v3, s0
	s_delay_alu instid0(VALU_DEP_2) | instskip(NEXT) | instid1(VALU_DEP_2)
	v_dual_cndmask_b32 v12, v12, v11, s0 :: v_dual_mov_b32 v11, v10
	v_xor_b32_e32 v13, v3, v10
	s_delay_alu instid0(VALU_DEP_2) | instskip(NEXT) | instid1(VALU_DEP_1)
	v_xor_b32_e32 v12, v12, v10
	v_sub_nc_u64_e32 v[10:11], v[12:13], v[10:11]
                                        ; implicit-def: $vgpr12_vgpr13
.LBB22_9:                               ;   in Loop: Header=BB22_3 Depth=1
	s_and_not1_saveexec_b32 s0, s25
	s_cbranch_execz .LBB22_11
; %bb.10:                               ;   in Loop: Header=BB22_3 Depth=1
	v_cvt_f32_u32_e32 v3, s12
	s_sub_co_i32 s2, 0, s12
	s_delay_alu instid0(VALU_DEP_1) | instskip(SKIP_1) | instid1(TRANS32_DEP_1)
	v_rcp_iflag_f32_e32 v3, v3
	v_nop
	v_mul_f32_e32 v3, 0x4f7ffffe, v3
	s_delay_alu instid0(VALU_DEP_1) | instskip(NEXT) | instid1(VALU_DEP_1)
	v_cvt_u32_f32_e32 v3, v3
	v_mul_lo_u32 v10, s2, v3
	s_delay_alu instid0(VALU_DEP_1) | instskip(NEXT) | instid1(VALU_DEP_1)
	v_mul_hi_u32 v10, v3, v10
	v_add_nc_u32_e32 v3, v3, v10
	s_delay_alu instid0(VALU_DEP_1) | instskip(NEXT) | instid1(VALU_DEP_1)
	v_mul_hi_u32 v3, v12, v3
	v_mul_lo_u32 v10, v3, s12
	s_delay_alu instid0(VALU_DEP_1) | instskip(NEXT) | instid1(VALU_DEP_1)
	v_dual_add_nc_u32 v11, 1, v3 :: v_dual_sub_nc_u32 v10, v12, v10
	v_subrev_nc_u32_e32 v12, s12, v10
	v_cmp_le_u32_e32 vcc_lo, s12, v10
	s_delay_alu instid0(VALU_DEP_2) | instskip(NEXT) | instid1(VALU_DEP_1)
	v_dual_cndmask_b32 v10, v10, v12 :: v_dual_cndmask_b32 v3, v3, v11
	v_cmp_le_u32_e32 vcc_lo, s12, v10
	s_delay_alu instid0(VALU_DEP_2) | instskip(NEXT) | instid1(VALU_DEP_1)
	v_add_nc_u32_e32 v11, 1, v3
	v_dual_cndmask_b32 v10, v3, v11 :: v_dual_mov_b32 v11, v2
.LBB22_11:                              ;   in Loop: Header=BB22_3 Depth=1
	s_or_b32 exec_lo, exec_lo, s0
	s_delay_alu instid0(VALU_DEP_1) | instskip(SKIP_1) | instid1(VALU_DEP_1)
	v_or_b32_e32 v3, s11, v11
                                        ; implicit-def: $vgpr12_vgpr13
	s_mov_b32 s0, exec_lo
	v_cmpx_ne_u64_e32 0, v[2:3]
	s_xor_b32 s25, exec_lo, s0
	s_cbranch_execz .LBB22_13
; %bb.12:                               ;   in Loop: Header=BB22_3 Depth=1
	s_ashr_i32 s28, s11, 31
	v_dual_mov_b32 v19, v2 :: v_dual_ashrrev_i32 v12, 31, v11
	s_mov_b32 s29, s28
	v_mov_b32_e32 v23, v2
	s_add_nc_u64 s[30:31], s[10:11], s[28:29]
	s_delay_alu instid0(VALU_DEP_2)
	v_mov_b32_e32 v13, v12
	s_xor_b64 s[30:31], s[30:31], s[28:29]
	v_mov_b32_e32 v27, v2
	s_cvt_f32_u32 s0, s30
	s_cvt_f32_u32 s2, s31
	s_sub_nc_u64 s[36:37], 0, s[30:31]
	v_add_nc_u64_e32 v[16:17], v[10:11], v[12:13]
	s_delay_alu instid0(SALU_CYCLE_1) | instskip(NEXT) | instid1(SALU_CYCLE_3)
	s_fmamk_f32 s0, s2, 0x4f800000, s0
	v_s_rcp_f32 s0, s0
	s_delay_alu instid0(VALU_DEP_1) | instskip(NEXT) | instid1(VALU_DEP_2)
	v_xor_b32_e32 v18, v16, v12
	v_xor_b32_e32 v22, v17, v12
	s_delay_alu instid0(TRANS32_DEP_1) | instskip(NEXT) | instid1(SALU_CYCLE_3)
	s_mul_f32 s0, s0, 0x5f7ffffc
	s_mul_f32 s2, s0, 0x2f800000
	s_delay_alu instid0(SALU_CYCLE_3) | instskip(NEXT) | instid1(SALU_CYCLE_3)
	s_trunc_f32 s2, s2
	s_fmamk_f32 s0, s2, 0xcf800000, s0
	s_cvt_u32_f32 s35, s2
	s_delay_alu instid0(SALU_CYCLE_2) | instskip(NEXT) | instid1(SALU_CYCLE_3)
	s_cvt_u32_f32 s34, s0
	s_mul_u64 s[38:39], s[36:37], s[34:35]
	s_delay_alu instid0(SALU_CYCLE_1)
	s_mul_hi_u32 s41, s34, s39
	s_mul_i32 s40, s34, s39
	s_mul_hi_u32 s2, s34, s38
	s_mul_i32 s27, s35, s38
	s_add_nc_u64 s[40:41], s[2:3], s[40:41]
	s_mul_hi_u32 s0, s35, s38
	s_mul_hi_u32 s29, s35, s39
	s_add_co_u32 s2, s40, s27
	s_add_co_ci_u32 s2, s41, s0
	s_mul_i32 s38, s35, s39
	s_add_co_ci_u32 s39, s29, 0
	s_delay_alu instid0(SALU_CYCLE_1) | instskip(NEXT) | instid1(SALU_CYCLE_1)
	s_add_nc_u64 s[38:39], s[2:3], s[38:39]
	s_add_co_u32 s34, s34, s38
	s_cselect_b32 s0, -1, 0
	s_delay_alu instid0(SALU_CYCLE_1) | instskip(SKIP_1) | instid1(SALU_CYCLE_1)
	s_cmp_lg_u32 s0, 0
	s_add_co_ci_u32 s35, s35, s39
	s_mul_u64 s[36:37], s[36:37], s[34:35]
	s_delay_alu instid0(SALU_CYCLE_1)
	s_mul_hi_u32 s39, s34, s37
	s_mul_i32 s38, s34, s37
	s_mul_hi_u32 s2, s34, s36
	s_mul_i32 s27, s35, s36
	s_add_nc_u64 s[38:39], s[2:3], s[38:39]
	s_mul_hi_u32 s0, s35, s36
	s_mul_hi_u32 s29, s35, s37
	s_add_co_u32 s2, s38, s27
	s_add_co_ci_u32 s2, s39, s0
	s_mul_i32 s36, s35, s37
	s_add_co_ci_u32 s37, s29, 0
	s_delay_alu instid0(SALU_CYCLE_1) | instskip(NEXT) | instid1(SALU_CYCLE_1)
	s_add_nc_u64 s[36:37], s[2:3], s[36:37]
	s_add_co_u32 s0, s34, s36
	s_cselect_b32 s2, -1, 0
	v_mul_hi_u32 v26, v18, s0
	s_cmp_lg_u32 s2, 0
	s_add_co_ci_u32 s2, s35, s37
	s_and_b64 s[34:35], s[0:1], s[6:7]
	v_mul_u64_e32 v[20:21], s[2:3], v[18:19]
	v_mul_u64_e32 v[16:17], s[34:35], v[22:23]
	;; [unrolled: 1-line block ×3, first 2 shown]
	s_delay_alu instid0(VALU_DEP_3) | instskip(NEXT) | instid1(VALU_DEP_1)
	v_add_nc_u64_e32 v[20:21], v[26:27], v[20:21]
	v_add_co_u32 v3, vcc_lo, v20, v16
	s_delay_alu instid0(VALU_DEP_2) | instskip(NEXT) | instid1(VALU_DEP_4)
	v_add_co_ci_u32_e32 v26, vcc_lo, v21, v17, vcc_lo
	v_add_co_ci_u32_e32 v25, vcc_lo, 0, v25, vcc_lo
	s_delay_alu instid0(VALU_DEP_1) | instskip(NEXT) | instid1(VALU_DEP_1)
	v_add_nc_u64_e32 v[16:17], v[26:27], v[24:25]
	v_mul_u64_e32 v[20:21], s[30:31], v[16:17]
	s_delay_alu instid0(VALU_DEP_1) | instskip(NEXT) | instid1(VALU_DEP_2)
	v_sub_nc_u32_e32 v3, v22, v21
	v_sub_co_u32 v11, vcc_lo, v18, v20
	s_delay_alu instid0(VALU_DEP_1) | instskip(NEXT) | instid1(VALU_DEP_3)
	v_sub_co_ci_u32_e64 v15, null, v22, v21, vcc_lo
	v_subrev_co_ci_u32_e64 v3, null, s31, v3, vcc_lo
	s_delay_alu instid0(VALU_DEP_3) | instskip(SKIP_1) | instid1(VALU_DEP_3)
	v_sub_co_u32 v13, s0, v11, s30
	v_add_nc_u64_e32 v[20:21], 1, v[16:17]
	v_subrev_co_ci_u32_e64 v3, null, 0, v3, s0
	s_delay_alu instid0(VALU_DEP_3) | instskip(SKIP_1) | instid1(VALU_DEP_3)
	v_cmp_le_u32_e32 vcc_lo, s30, v13
	v_cndmask_b32_e64 v13, 0, -1, vcc_lo
	v_cmp_le_u32_e32 vcc_lo, s31, v3
	v_cndmask_b32_e64 v18, 0, -1, vcc_lo
	;; [unrolled: 2-line block ×4, first 2 shown]
	v_cmp_eq_u32_e32 vcc_lo, s31, v3
	v_cndmask_b32_e32 v3, v18, v13, vcc_lo
	v_cmp_eq_u32_e32 vcc_lo, s31, v15
	v_add_nc_u64_e32 v[18:19], 2, v[16:17]
	v_cndmask_b32_e32 v11, v22, v11, vcc_lo
	s_delay_alu instid0(VALU_DEP_4) | instskip(NEXT) | instid1(VALU_DEP_2)
	v_cmp_ne_u32_e32 vcc_lo, 0, v3
	v_cmp_ne_u32_e64 s0, 0, v11
	s_delay_alu instid0(VALU_DEP_4) | instskip(NEXT) | instid1(VALU_DEP_1)
	v_dual_cndmask_b32 v3, v21, v19, vcc_lo :: v_dual_cndmask_b32 v11, v20, v18, vcc_lo
	v_dual_cndmask_b32 v3, v17, v3, s0 :: v_dual_bitop2_b32 v12, s28, v12 bitop3:0x14
	s_delay_alu instid0(VALU_DEP_1) | instskip(NEXT) | instid1(VALU_DEP_1)
	v_dual_cndmask_b32 v11, v16, v11, s0 :: v_dual_bitop2_b32 v17, v3, v12 bitop3:0x14
	v_dual_mov_b32 v13, v12 :: v_dual_bitop2_b32 v16, v11, v12 bitop3:0x14
	s_delay_alu instid0(VALU_DEP_1)
	v_sub_nc_u64_e32 v[12:13], v[16:17], v[12:13]
.LBB22_13:                              ;   in Loop: Header=BB22_3 Depth=1
	s_and_not1_saveexec_b32 s0, s25
	s_cbranch_execz .LBB22_2
; %bb.14:                               ;   in Loop: Header=BB22_3 Depth=1
	v_cvt_f32_u32_e32 v3, s10
	s_sub_co_i32 s2, 0, s10
	s_delay_alu instid0(VALU_DEP_1) | instskip(SKIP_1) | instid1(TRANS32_DEP_1)
	v_rcp_iflag_f32_e32 v3, v3
	v_nop
	v_mul_f32_e32 v3, 0x4f7ffffe, v3
	s_delay_alu instid0(VALU_DEP_1) | instskip(NEXT) | instid1(VALU_DEP_1)
	v_cvt_u32_f32_e32 v3, v3
	v_mul_lo_u32 v11, s2, v3
	s_delay_alu instid0(VALU_DEP_1) | instskip(NEXT) | instid1(VALU_DEP_1)
	v_mul_hi_u32 v11, v3, v11
	v_add_nc_u32_e32 v3, v3, v11
	s_delay_alu instid0(VALU_DEP_1) | instskip(NEXT) | instid1(VALU_DEP_1)
	v_mul_hi_u32 v3, v10, v3
	v_mul_lo_u32 v11, v3, s10
	s_delay_alu instid0(VALU_DEP_1) | instskip(NEXT) | instid1(VALU_DEP_1)
	v_sub_nc_u32_e32 v11, v10, v11
	v_subrev_nc_u32_e32 v13, s10, v11
	v_cmp_le_u32_e32 vcc_lo, s10, v11
	s_delay_alu instid0(VALU_DEP_2) | instskip(NEXT) | instid1(VALU_DEP_1)
	v_dual_cndmask_b32 v11, v11, v13 :: v_dual_add_nc_u32 v12, 1, v3
	v_cndmask_b32_e32 v3, v3, v12, vcc_lo
	s_delay_alu instid0(VALU_DEP_2) | instskip(NEXT) | instid1(VALU_DEP_2)
	v_cmp_le_u32_e32 vcc_lo, s10, v11
	v_add_nc_u32_e32 v12, 1, v3
	s_delay_alu instid0(VALU_DEP_1)
	v_cndmask_b32_e32 v12, v3, v12, vcc_lo
	s_branch .LBB22_2
.LBB22_15:
	s_endpgm
	.section	.rodata,"a",@progbits
	.p2align	6, 0x0
	.amdhsa_kernel _ZN2at6native31max_unpooling2d_backward_kernelIsEEvlPKT_PKllllllPS2_
		.amdhsa_group_segment_fixed_size 0
		.amdhsa_private_segment_fixed_size 0
		.amdhsa_kernarg_size 328
		.amdhsa_user_sgpr_count 2
		.amdhsa_user_sgpr_dispatch_ptr 0
		.amdhsa_user_sgpr_queue_ptr 0
		.amdhsa_user_sgpr_kernarg_segment_ptr 1
		.amdhsa_user_sgpr_dispatch_id 0
		.amdhsa_user_sgpr_kernarg_preload_length 0
		.amdhsa_user_sgpr_kernarg_preload_offset 0
		.amdhsa_user_sgpr_private_segment_size 0
		.amdhsa_wavefront_size32 1
		.amdhsa_uses_dynamic_stack 0
		.amdhsa_enable_private_segment 0
		.amdhsa_system_sgpr_workgroup_id_x 1
		.amdhsa_system_sgpr_workgroup_id_y 0
		.amdhsa_system_sgpr_workgroup_id_z 0
		.amdhsa_system_sgpr_workgroup_info 0
		.amdhsa_system_vgpr_workitem_id 0
		.amdhsa_next_free_vgpr 28
		.amdhsa_next_free_sgpr 42
		.amdhsa_named_barrier_count 0
		.amdhsa_reserve_vcc 1
		.amdhsa_float_round_mode_32 0
		.amdhsa_float_round_mode_16_64 0
		.amdhsa_float_denorm_mode_32 3
		.amdhsa_float_denorm_mode_16_64 3
		.amdhsa_fp16_overflow 0
		.amdhsa_memory_ordered 1
		.amdhsa_forward_progress 1
		.amdhsa_inst_pref_size 21
		.amdhsa_round_robin_scheduling 0
		.amdhsa_exception_fp_ieee_invalid_op 0
		.amdhsa_exception_fp_denorm_src 0
		.amdhsa_exception_fp_ieee_div_zero 0
		.amdhsa_exception_fp_ieee_overflow 0
		.amdhsa_exception_fp_ieee_underflow 0
		.amdhsa_exception_fp_ieee_inexact 0
		.amdhsa_exception_int_div_zero 0
	.end_amdhsa_kernel
	.section	.text._ZN2at6native31max_unpooling2d_backward_kernelIsEEvlPKT_PKllllllPS2_,"axG",@progbits,_ZN2at6native31max_unpooling2d_backward_kernelIsEEvlPKT_PKllllllPS2_,comdat
.Lfunc_end22:
	.size	_ZN2at6native31max_unpooling2d_backward_kernelIsEEvlPKT_PKllllllPS2_, .Lfunc_end22-_ZN2at6native31max_unpooling2d_backward_kernelIsEEvlPKT_PKllllllPS2_
                                        ; -- End function
	.set _ZN2at6native31max_unpooling2d_backward_kernelIsEEvlPKT_PKllllllPS2_.num_vgpr, 28
	.set _ZN2at6native31max_unpooling2d_backward_kernelIsEEvlPKT_PKllllllPS2_.num_agpr, 0
	.set _ZN2at6native31max_unpooling2d_backward_kernelIsEEvlPKT_PKllllllPS2_.numbered_sgpr, 42
	.set _ZN2at6native31max_unpooling2d_backward_kernelIsEEvlPKT_PKllllllPS2_.num_named_barrier, 0
	.set _ZN2at6native31max_unpooling2d_backward_kernelIsEEvlPKT_PKllllllPS2_.private_seg_size, 0
	.set _ZN2at6native31max_unpooling2d_backward_kernelIsEEvlPKT_PKllllllPS2_.uses_vcc, 1
	.set _ZN2at6native31max_unpooling2d_backward_kernelIsEEvlPKT_PKllllllPS2_.uses_flat_scratch, 0
	.set _ZN2at6native31max_unpooling2d_backward_kernelIsEEvlPKT_PKllllllPS2_.has_dyn_sized_stack, 0
	.set _ZN2at6native31max_unpooling2d_backward_kernelIsEEvlPKT_PKllllllPS2_.has_recursion, 0
	.set _ZN2at6native31max_unpooling2d_backward_kernelIsEEvlPKT_PKllllllPS2_.has_indirect_call, 0
	.section	.AMDGPU.csdata,"",@progbits
; Kernel info:
; codeLenInByte = 2600
; TotalNumSgprs: 44
; NumVgprs: 28
; ScratchSize: 0
; MemoryBound: 0
; FloatMode: 240
; IeeeMode: 1
; LDSByteSize: 0 bytes/workgroup (compile time only)
; SGPRBlocks: 0
; VGPRBlocks: 1
; NumSGPRsForWavesPerEU: 44
; NumVGPRsForWavesPerEU: 28
; NamedBarCnt: 0
; Occupancy: 16
; WaveLimiterHint : 1
; COMPUTE_PGM_RSRC2:SCRATCH_EN: 0
; COMPUTE_PGM_RSRC2:USER_SGPR: 2
; COMPUTE_PGM_RSRC2:TRAP_HANDLER: 0
; COMPUTE_PGM_RSRC2:TGID_X_EN: 1
; COMPUTE_PGM_RSRC2:TGID_Y_EN: 0
; COMPUTE_PGM_RSRC2:TGID_Z_EN: 0
; COMPUTE_PGM_RSRC2:TIDIG_COMP_CNT: 0
	.section	.text._ZN2at6native31max_unpooling2d_backward_kernelIdEEvlPKT_PKllllllPS2_,"axG",@progbits,_ZN2at6native31max_unpooling2d_backward_kernelIdEEvlPKT_PKllllllPS2_,comdat
	.protected	_ZN2at6native31max_unpooling2d_backward_kernelIdEEvlPKT_PKllllllPS2_ ; -- Begin function _ZN2at6native31max_unpooling2d_backward_kernelIdEEvlPKT_PKllllllPS2_
	.globl	_ZN2at6native31max_unpooling2d_backward_kernelIdEEvlPKT_PKllllllPS2_
	.p2align	8
	.type	_ZN2at6native31max_unpooling2d_backward_kernelIdEEvlPKT_PKllllllPS2_,@function
_ZN2at6native31max_unpooling2d_backward_kernelIdEEvlPKT_PKllllllPS2_: ; @_ZN2at6native31max_unpooling2d_backward_kernelIdEEvlPKT_PKllllllPS2_
; %bb.0:
	s_load_b32 s2, s[0:1], 0x54
	s_bfe_u32 s4, ttmp6, 0x4000c
	v_mov_b32_e32 v2, 0
	s_add_co_i32 s21, s4, 1
	s_load_b512 s[4:19], s[0:1], 0x0
	s_and_b32 s3, ttmp6, 15
	s_mul_i32 s21, ttmp9, s21
	s_getreg_b32 s20, hwreg(HW_REG_IB_STS2, 6, 4)
	v_mov_b32_e32 v1, v2
	s_add_co_i32 s3, s3, s21
	s_wait_kmcnt 0x0
	s_and_b32 s2, s2, 0xffff
	s_cmp_eq_u32 s20, 0
	s_mov_b32 s20, exec_lo
	s_cselect_b32 s3, ttmp9, s3
	s_delay_alu instid0(SALU_CYCLE_1) | instskip(SKIP_1) | instid1(VALU_DEP_1)
	v_mad_nc_u64_u32 v[0:1], s2, s3, v[0:1]
	s_mov_b32 s3, 0
	v_cmpx_gt_i64_e64 s[4:5], v[0:1]
	s_cbranch_execz .LBB23_15
; %bb.1:
	v_cvt_f32_u32_e32 v3, s14
	s_sub_co_i32 s22, 0, s14
	s_add_nc_u64 s[20:21], s[0:1], 0x48
	v_mov_b64_e32 v[4:5], s[6:7]
	s_load_b32 s23, s[20:21], 0x0
	v_rcp_iflag_f32_e32 v3, v3
	s_wait_xcnt 0x0
	s_load_b64 s[20:21], s[0:1], 0x40
	s_mul_u64 s[16:17], s[18:19], s[16:17]
	s_mov_b32 s19, s3
	s_mov_b64 s[6:7], 0xffffffff
	s_ashr_i32 s24, s15, 31
	s_ashr_i32 s26, s13, 31
	v_nop
	v_mul_f32_e32 v3, 0x4f7ffffe, v3
	s_wait_xcnt 0x0
	s_mov_b32 s1, 0
	s_delay_alu instid0(VALU_DEP_1) | instskip(NEXT) | instid1(VALU_DEP_1)
	v_cvt_u32_f32_e32 v6, v3
	v_mul_lo_u32 v3, s22, v6
	s_mov_b32 s22, s3
	s_wait_kmcnt 0x0
	s_mul_i32 s18, s23, s2
	s_delay_alu instid0(SALU_CYCLE_1) | instskip(NEXT) | instid1(VALU_DEP_1)
	s_mov_b32 s23, s18
	v_mul_hi_u32 v7, v6, v3
	s_delay_alu instid0(VALU_DEP_1) | instskip(NEXT) | instid1(VALU_DEP_1)
	v_dual_mov_b32 v3, v0 :: v_dual_add_nc_u32 v14, v6, v7
	v_mov_b64_e32 v[6:7], v[2:3]
	s_branch .LBB23_3
.LBB23_2:                               ;   in Loop: Header=BB23_3 Depth=1
	s_or_b32 exec_lo, exec_lo, s0
	v_lshlrev_b64_e32 v[8:9], 3, v[8:9]
	s_delay_alu instid0(VALU_DEP_2)
	v_mul_lo_u32 v11, v12, s10
	v_add_nc_u64_e32 v[0:1], s[18:19], v[0:1]
	v_add_nc_u64_e32 v[6:7], s[22:23], v[6:7]
	v_ashrrev_i32_e32 v13, 31, v12
	v_add_nc_u64_e32 v[16:17], s[8:9], v[8:9]
	v_add_nc_u64_e32 v[8:9], s[20:21], v[8:9]
	v_cmp_le_i64_e32 vcc_lo, s[4:5], v[0:1]
	v_sub_nc_u32_e32 v10, v10, v11
	global_load_b32 v3, v[16:17], off
	s_or_b32 s1, vcc_lo, s1
	v_ashrrev_i32_e32 v11, 31, v10
	s_delay_alu instid0(VALU_DEP_1) | instskip(NEXT) | instid1(VALU_DEP_1)
	v_mad_nc_u64_u32 v[10:11], v12, s10, v[10:11]
	v_mad_u32 v11, v13, s10, v11
	s_delay_alu instid0(VALU_DEP_1) | instskip(NEXT) | instid1(VALU_DEP_1)
	v_mad_u32 v11, v12, s11, v11
	v_mul_u64_e32 v[10:11], s[16:17], v[10:11]
	s_delay_alu instid0(VALU_DEP_1) | instskip(SKIP_2) | instid1(VALU_DEP_1)
	v_lshl_add_u64 v[4:5], v[10:11], 3, v[4:5]
	s_wait_loadcnt 0x0
	v_ashrrev_i64 v[12:13], 29, v[2:3]
	v_add_nc_u64_e32 v[10:11], v[4:5], v[12:13]
	global_load_b64 v[10:11], v[10:11], off
	s_wait_loadcnt 0x0
	global_store_b64 v[8:9], v[10:11], off
	s_wait_xcnt 0x0
	s_and_not1_b32 exec_lo, exec_lo, s1
	s_cbranch_execz .LBB23_15
.LBB23_3:                               ; =>This Inner Loop Header: Depth=1
	s_delay_alu instid0(VALU_DEP_1) | instskip(SKIP_1) | instid1(VALU_DEP_1)
	v_dual_mov_b32 v8, v7 :: v_dual_ashrrev_i32 v9, 31, v7
                                        ; implicit-def: $vgpr12_vgpr13
	s_mov_b32 s0, exec_lo
	v_or_b32_e32 v3, s15, v9
	s_delay_alu instid0(VALU_DEP_1)
	v_cmpx_ne_u64_e32 0, v[2:3]
	s_xor_b32 s27, exec_lo, s0
	s_cbranch_execz .LBB23_5
; %bb.4:                                ;   in Loop: Header=BB23_3 Depth=1
	s_mov_b32 s25, s24
	v_dual_mov_b32 v17, v2 :: v_dual_ashrrev_i32 v10, 31, v9
	s_add_nc_u64 s[28:29], s[14:15], s[24:25]
	s_delay_alu instid0(SALU_CYCLE_1) | instskip(NEXT) | instid1(VALU_DEP_1)
	s_xor_b64 s[28:29], s[28:29], s[24:25]
	v_mov_b32_e32 v11, v10
	s_cvt_f32_u32 s0, s28
	s_cvt_f32_u32 s2, s29
	s_sub_nc_u64 s[34:35], 0, s[28:29]
	s_delay_alu instid0(VALU_DEP_1) | instskip(NEXT) | instid1(SALU_CYCLE_1)
	v_add_nc_u64_e32 v[12:13], v[8:9], v[10:11]
	s_fmamk_f32 s0, s2, 0x4f800000, s0
	v_mov_b32_e32 v21, v2
	s_delay_alu instid0(SALU_CYCLE_2) | instskip(NEXT) | instid1(VALU_DEP_2)
	v_s_rcp_f32 s0, s0
	v_xor_b32_e32 v16, v12, v10
	s_delay_alu instid0(VALU_DEP_3) | instskip(NEXT) | instid1(TRANS32_DEP_1)
	v_dual_mov_b32 v25, v2 :: v_dual_bitop2_b32 v20, v13, v10 bitop3:0x14
	s_mul_f32 s0, s0, 0x5f7ffffc
	s_delay_alu instid0(SALU_CYCLE_3) | instskip(NEXT) | instid1(SALU_CYCLE_3)
	s_mul_f32 s2, s0, 0x2f800000
	s_trunc_f32 s2, s2
	s_delay_alu instid0(SALU_CYCLE_3) | instskip(SKIP_1) | instid1(SALU_CYCLE_2)
	s_fmamk_f32 s0, s2, 0xcf800000, s0
	s_cvt_u32_f32 s31, s2
	s_cvt_u32_f32 s30, s0
	s_delay_alu instid0(SALU_CYCLE_3) | instskip(NEXT) | instid1(SALU_CYCLE_1)
	s_mul_u64 s[36:37], s[34:35], s[30:31]
	s_mul_hi_u32 s39, s30, s37
	s_mul_i32 s38, s30, s37
	s_mul_hi_u32 s2, s30, s36
	s_mul_i32 s25, s31, s36
	s_add_nc_u64 s[38:39], s[2:3], s[38:39]
	s_mul_hi_u32 s0, s31, s36
	s_mul_hi_u32 s33, s31, s37
	s_add_co_u32 s2, s38, s25
	s_add_co_ci_u32 s2, s39, s0
	s_mul_i32 s36, s31, s37
	s_add_co_ci_u32 s37, s33, 0
	s_delay_alu instid0(SALU_CYCLE_1) | instskip(NEXT) | instid1(SALU_CYCLE_1)
	s_add_nc_u64 s[36:37], s[2:3], s[36:37]
	s_add_co_u32 s30, s30, s36
	s_cselect_b32 s0, -1, 0
	s_delay_alu instid0(SALU_CYCLE_1) | instskip(SKIP_1) | instid1(SALU_CYCLE_1)
	s_cmp_lg_u32 s0, 0
	s_add_co_ci_u32 s31, s31, s37
	s_mul_u64 s[34:35], s[34:35], s[30:31]
	s_delay_alu instid0(SALU_CYCLE_1)
	s_mul_hi_u32 s37, s30, s35
	s_mul_i32 s36, s30, s35
	s_mul_hi_u32 s2, s30, s34
	s_mul_i32 s25, s31, s34
	s_add_nc_u64 s[36:37], s[2:3], s[36:37]
	s_mul_hi_u32 s0, s31, s34
	s_mul_hi_u32 s33, s31, s35
	s_add_co_u32 s2, s36, s25
	s_add_co_ci_u32 s2, s37, s0
	s_mul_i32 s34, s31, s35
	s_add_co_ci_u32 s35, s33, 0
	s_delay_alu instid0(SALU_CYCLE_1) | instskip(NEXT) | instid1(SALU_CYCLE_1)
	s_add_nc_u64 s[34:35], s[2:3], s[34:35]
	s_add_co_u32 s0, s30, s34
	s_cselect_b32 s2, -1, 0
	v_mul_hi_u32 v24, v16, s0
	s_cmp_lg_u32 s2, 0
	s_add_co_ci_u32 s2, s31, s35
	s_and_b64 s[30:31], s[0:1], s[6:7]
	v_mul_u64_e32 v[18:19], s[2:3], v[16:17]
	v_mul_u64_e32 v[12:13], s[30:31], v[20:21]
	;; [unrolled: 1-line block ×3, first 2 shown]
	s_delay_alu instid0(VALU_DEP_3) | instskip(NEXT) | instid1(VALU_DEP_1)
	v_add_nc_u64_e32 v[18:19], v[24:25], v[18:19]
	v_add_co_u32 v3, vcc_lo, v18, v12
	s_delay_alu instid0(VALU_DEP_2) | instskip(NEXT) | instid1(VALU_DEP_4)
	v_add_co_ci_u32_e32 v24, vcc_lo, v19, v13, vcc_lo
	v_add_co_ci_u32_e32 v23, vcc_lo, 0, v23, vcc_lo
	s_delay_alu instid0(VALU_DEP_1) | instskip(NEXT) | instid1(VALU_DEP_1)
	v_add_nc_u64_e32 v[12:13], v[24:25], v[22:23]
	v_mul_u64_e32 v[18:19], s[28:29], v[12:13]
	s_delay_alu instid0(VALU_DEP_1) | instskip(NEXT) | instid1(VALU_DEP_2)
	v_sub_nc_u32_e32 v3, v20, v19
	v_sub_co_u32 v11, vcc_lo, v16, v18
	s_delay_alu instid0(VALU_DEP_1) | instskip(NEXT) | instid1(VALU_DEP_3)
	v_sub_co_ci_u32_e64 v20, null, v20, v19, vcc_lo
	v_subrev_co_ci_u32_e64 v3, null, s29, v3, vcc_lo
	s_delay_alu instid0(VALU_DEP_3) | instskip(SKIP_1) | instid1(VALU_DEP_3)
	v_sub_co_u32 v15, s0, v11, s28
	v_add_nc_u64_e32 v[18:19], 1, v[12:13]
	v_subrev_co_ci_u32_e64 v3, null, 0, v3, s0
	s_delay_alu instid0(VALU_DEP_3) | instskip(SKIP_1) | instid1(VALU_DEP_3)
	v_cmp_le_u32_e32 vcc_lo, s28, v15
	v_cndmask_b32_e64 v15, 0, -1, vcc_lo
	v_cmp_le_u32_e32 vcc_lo, s29, v3
	v_cndmask_b32_e64 v16, 0, -1, vcc_lo
	;; [unrolled: 2-line block ×4, first 2 shown]
	v_cmp_eq_u32_e32 vcc_lo, s29, v3
	v_cndmask_b32_e32 v3, v16, v15, vcc_lo
	v_cmp_eq_u32_e32 vcc_lo, s29, v20
	v_add_nc_u64_e32 v[16:17], 2, v[12:13]
	v_cndmask_b32_e32 v11, v21, v11, vcc_lo
	s_delay_alu instid0(VALU_DEP_4) | instskip(NEXT) | instid1(VALU_DEP_3)
	v_cmp_ne_u32_e32 vcc_lo, 0, v3
	v_cndmask_b32_e32 v3, v19, v17, vcc_lo
	s_delay_alu instid0(VALU_DEP_3) | instskip(SKIP_1) | instid1(VALU_DEP_2)
	v_cmp_ne_u32_e64 s0, 0, v11
	v_dual_cndmask_b32 v11, v18, v16, vcc_lo :: v_dual_bitop2_b32 v10, s24, v10 bitop3:0x14
	v_cndmask_b32_e64 v3, v13, v3, s0
	s_delay_alu instid0(VALU_DEP_2) | instskip(NEXT) | instid1(VALU_DEP_2)
	v_dual_cndmask_b32 v12, v12, v11, s0 :: v_dual_mov_b32 v11, v10
	v_xor_b32_e32 v13, v3, v10
	s_delay_alu instid0(VALU_DEP_2) | instskip(NEXT) | instid1(VALU_DEP_1)
	v_xor_b32_e32 v12, v12, v10
	v_sub_nc_u64_e32 v[12:13], v[12:13], v[10:11]
.LBB23_5:                               ;   in Loop: Header=BB23_3 Depth=1
	s_and_not1_saveexec_b32 s0, s27
	s_cbranch_execz .LBB23_7
; %bb.6:                                ;   in Loop: Header=BB23_3 Depth=1
	v_mul_hi_u32 v3, v7, v14
	v_mov_b32_e32 v13, v2
	s_delay_alu instid0(VALU_DEP_2) | instskip(NEXT) | instid1(VALU_DEP_1)
	v_mul_lo_u32 v10, v3, s14
	v_dual_add_nc_u32 v11, 1, v3 :: v_dual_sub_nc_u32 v10, v7, v10
	s_delay_alu instid0(VALU_DEP_1) | instskip(SKIP_1) | instid1(VALU_DEP_2)
	v_subrev_nc_u32_e32 v12, s14, v10
	v_cmp_le_u32_e32 vcc_lo, s14, v10
	v_dual_cndmask_b32 v10, v10, v12 :: v_dual_cndmask_b32 v3, v3, v11
	s_delay_alu instid0(VALU_DEP_1) | instskip(NEXT) | instid1(VALU_DEP_2)
	v_cmp_le_u32_e32 vcc_lo, s14, v10
	v_add_nc_u32_e32 v11, 1, v3
	s_delay_alu instid0(VALU_DEP_1)
	v_cndmask_b32_e32 v12, v3, v11, vcc_lo
.LBB23_7:                               ;   in Loop: Header=BB23_3 Depth=1
	s_or_b32 exec_lo, exec_lo, s0
	s_delay_alu instid0(VALU_DEP_1) | instskip(SKIP_1) | instid1(VALU_DEP_1)
	v_or_b32_e32 v3, s13, v13
                                        ; implicit-def: $vgpr10_vgpr11
	s_mov_b32 s0, exec_lo
	v_cmpx_ne_u64_e32 0, v[2:3]
	s_xor_b32 s25, exec_lo, s0
	s_cbranch_execz .LBB23_9
; %bb.8:                                ;   in Loop: Header=BB23_3 Depth=1
	s_mov_b32 s27, s26
	v_dual_mov_b32 v17, v2 :: v_dual_ashrrev_i32 v10, 31, v13
	s_add_nc_u64 s[28:29], s[12:13], s[26:27]
	s_delay_alu instid0(SALU_CYCLE_1) | instskip(NEXT) | instid1(VALU_DEP_1)
	s_xor_b64 s[28:29], s[28:29], s[26:27]
	v_mov_b32_e32 v11, v10
	s_cvt_f32_u32 s0, s28
	s_cvt_f32_u32 s2, s29
	s_sub_nc_u64 s[34:35], 0, s[28:29]
	s_delay_alu instid0(VALU_DEP_1) | instskip(NEXT) | instid1(SALU_CYCLE_1)
	v_add_nc_u64_e32 v[12:13], v[12:13], v[10:11]
	s_fmamk_f32 s0, s2, 0x4f800000, s0
	v_mov_b32_e32 v21, v2
	s_delay_alu instid0(SALU_CYCLE_2) | instskip(NEXT) | instid1(VALU_DEP_2)
	v_s_rcp_f32 s0, s0
	v_xor_b32_e32 v16, v12, v10
	s_delay_alu instid0(VALU_DEP_3) | instskip(NEXT) | instid1(TRANS32_DEP_1)
	v_dual_mov_b32 v25, v2 :: v_dual_bitop2_b32 v20, v13, v10 bitop3:0x14
	s_mul_f32 s0, s0, 0x5f7ffffc
	s_delay_alu instid0(SALU_CYCLE_3) | instskip(NEXT) | instid1(SALU_CYCLE_3)
	s_mul_f32 s2, s0, 0x2f800000
	s_trunc_f32 s2, s2
	s_delay_alu instid0(SALU_CYCLE_3) | instskip(SKIP_1) | instid1(SALU_CYCLE_2)
	s_fmamk_f32 s0, s2, 0xcf800000, s0
	s_cvt_u32_f32 s31, s2
	s_cvt_u32_f32 s30, s0
	s_delay_alu instid0(SALU_CYCLE_3) | instskip(NEXT) | instid1(SALU_CYCLE_1)
	s_mul_u64 s[36:37], s[34:35], s[30:31]
	s_mul_hi_u32 s39, s30, s37
	s_mul_i32 s38, s30, s37
	s_mul_hi_u32 s2, s30, s36
	s_mul_i32 s27, s31, s36
	s_add_nc_u64 s[38:39], s[2:3], s[38:39]
	s_mul_hi_u32 s0, s31, s36
	s_mul_hi_u32 s33, s31, s37
	s_add_co_u32 s2, s38, s27
	s_add_co_ci_u32 s2, s39, s0
	s_mul_i32 s36, s31, s37
	s_add_co_ci_u32 s37, s33, 0
	s_delay_alu instid0(SALU_CYCLE_1) | instskip(NEXT) | instid1(SALU_CYCLE_1)
	s_add_nc_u64 s[36:37], s[2:3], s[36:37]
	s_add_co_u32 s30, s30, s36
	s_cselect_b32 s0, -1, 0
	s_delay_alu instid0(SALU_CYCLE_1) | instskip(SKIP_1) | instid1(SALU_CYCLE_1)
	s_cmp_lg_u32 s0, 0
	s_add_co_ci_u32 s31, s31, s37
	s_mul_u64 s[34:35], s[34:35], s[30:31]
	s_delay_alu instid0(SALU_CYCLE_1)
	s_mul_hi_u32 s37, s30, s35
	s_mul_i32 s36, s30, s35
	s_mul_hi_u32 s2, s30, s34
	s_mul_i32 s27, s31, s34
	s_add_nc_u64 s[36:37], s[2:3], s[36:37]
	s_mul_hi_u32 s0, s31, s34
	s_mul_hi_u32 s33, s31, s35
	s_add_co_u32 s2, s36, s27
	s_add_co_ci_u32 s2, s37, s0
	s_mul_i32 s34, s31, s35
	s_add_co_ci_u32 s35, s33, 0
	s_delay_alu instid0(SALU_CYCLE_1) | instskip(NEXT) | instid1(SALU_CYCLE_1)
	s_add_nc_u64 s[34:35], s[2:3], s[34:35]
	s_add_co_u32 s0, s30, s34
	s_cselect_b32 s2, -1, 0
	v_mul_hi_u32 v24, v16, s0
	s_cmp_lg_u32 s2, 0
	s_add_co_ci_u32 s2, s31, s35
	s_and_b64 s[30:31], s[0:1], s[6:7]
	v_mul_u64_e32 v[18:19], s[2:3], v[16:17]
	v_mul_u64_e32 v[12:13], s[30:31], v[20:21]
	;; [unrolled: 1-line block ×3, first 2 shown]
	s_delay_alu instid0(VALU_DEP_3) | instskip(NEXT) | instid1(VALU_DEP_1)
	v_add_nc_u64_e32 v[18:19], v[24:25], v[18:19]
	v_add_co_u32 v3, vcc_lo, v18, v12
	s_delay_alu instid0(VALU_DEP_2) | instskip(NEXT) | instid1(VALU_DEP_4)
	v_add_co_ci_u32_e32 v24, vcc_lo, v19, v13, vcc_lo
	v_add_co_ci_u32_e32 v23, vcc_lo, 0, v23, vcc_lo
	s_delay_alu instid0(VALU_DEP_1) | instskip(NEXT) | instid1(VALU_DEP_1)
	v_add_nc_u64_e32 v[12:13], v[24:25], v[22:23]
	v_mul_u64_e32 v[18:19], s[28:29], v[12:13]
	s_delay_alu instid0(VALU_DEP_1) | instskip(NEXT) | instid1(VALU_DEP_2)
	v_sub_nc_u32_e32 v3, v20, v19
	v_sub_co_u32 v11, vcc_lo, v16, v18
	s_delay_alu instid0(VALU_DEP_1) | instskip(NEXT) | instid1(VALU_DEP_3)
	v_sub_co_ci_u32_e64 v20, null, v20, v19, vcc_lo
	v_subrev_co_ci_u32_e64 v3, null, s29, v3, vcc_lo
	s_delay_alu instid0(VALU_DEP_3) | instskip(SKIP_1) | instid1(VALU_DEP_3)
	v_sub_co_u32 v15, s0, v11, s28
	v_add_nc_u64_e32 v[18:19], 1, v[12:13]
	v_subrev_co_ci_u32_e64 v3, null, 0, v3, s0
	s_delay_alu instid0(VALU_DEP_3) | instskip(SKIP_1) | instid1(VALU_DEP_3)
	v_cmp_le_u32_e32 vcc_lo, s28, v15
	v_cndmask_b32_e64 v15, 0, -1, vcc_lo
	v_cmp_le_u32_e32 vcc_lo, s29, v3
	v_cndmask_b32_e64 v16, 0, -1, vcc_lo
	;; [unrolled: 2-line block ×4, first 2 shown]
	v_cmp_eq_u32_e32 vcc_lo, s29, v3
	v_cndmask_b32_e32 v3, v16, v15, vcc_lo
	v_cmp_eq_u32_e32 vcc_lo, s29, v20
	v_add_nc_u64_e32 v[16:17], 2, v[12:13]
	v_cndmask_b32_e32 v11, v21, v11, vcc_lo
	s_delay_alu instid0(VALU_DEP_4) | instskip(NEXT) | instid1(VALU_DEP_3)
	v_cmp_ne_u32_e32 vcc_lo, 0, v3
	v_cndmask_b32_e32 v3, v19, v17, vcc_lo
	s_delay_alu instid0(VALU_DEP_3) | instskip(SKIP_1) | instid1(VALU_DEP_2)
	v_cmp_ne_u32_e64 s0, 0, v11
	v_dual_cndmask_b32 v11, v18, v16, vcc_lo :: v_dual_bitop2_b32 v10, s26, v10 bitop3:0x14
	v_cndmask_b32_e64 v3, v13, v3, s0
	s_delay_alu instid0(VALU_DEP_2) | instskip(NEXT) | instid1(VALU_DEP_2)
	v_dual_cndmask_b32 v12, v12, v11, s0 :: v_dual_mov_b32 v11, v10
	v_xor_b32_e32 v13, v3, v10
	s_delay_alu instid0(VALU_DEP_2) | instskip(NEXT) | instid1(VALU_DEP_1)
	v_xor_b32_e32 v12, v12, v10
	v_sub_nc_u64_e32 v[10:11], v[12:13], v[10:11]
                                        ; implicit-def: $vgpr12_vgpr13
.LBB23_9:                               ;   in Loop: Header=BB23_3 Depth=1
	s_and_not1_saveexec_b32 s0, s25
	s_cbranch_execz .LBB23_11
; %bb.10:                               ;   in Loop: Header=BB23_3 Depth=1
	v_cvt_f32_u32_e32 v3, s12
	s_sub_co_i32 s2, 0, s12
	s_delay_alu instid0(VALU_DEP_1) | instskip(SKIP_1) | instid1(TRANS32_DEP_1)
	v_rcp_iflag_f32_e32 v3, v3
	v_nop
	v_mul_f32_e32 v3, 0x4f7ffffe, v3
	s_delay_alu instid0(VALU_DEP_1) | instskip(NEXT) | instid1(VALU_DEP_1)
	v_cvt_u32_f32_e32 v3, v3
	v_mul_lo_u32 v10, s2, v3
	s_delay_alu instid0(VALU_DEP_1) | instskip(NEXT) | instid1(VALU_DEP_1)
	v_mul_hi_u32 v10, v3, v10
	v_add_nc_u32_e32 v3, v3, v10
	s_delay_alu instid0(VALU_DEP_1) | instskip(NEXT) | instid1(VALU_DEP_1)
	v_mul_hi_u32 v3, v12, v3
	v_mul_lo_u32 v10, v3, s12
	s_delay_alu instid0(VALU_DEP_1) | instskip(NEXT) | instid1(VALU_DEP_1)
	v_dual_add_nc_u32 v11, 1, v3 :: v_dual_sub_nc_u32 v10, v12, v10
	v_subrev_nc_u32_e32 v12, s12, v10
	v_cmp_le_u32_e32 vcc_lo, s12, v10
	s_delay_alu instid0(VALU_DEP_2) | instskip(NEXT) | instid1(VALU_DEP_1)
	v_dual_cndmask_b32 v10, v10, v12 :: v_dual_cndmask_b32 v3, v3, v11
	v_cmp_le_u32_e32 vcc_lo, s12, v10
	s_delay_alu instid0(VALU_DEP_2) | instskip(NEXT) | instid1(VALU_DEP_1)
	v_add_nc_u32_e32 v11, 1, v3
	v_dual_cndmask_b32 v10, v3, v11 :: v_dual_mov_b32 v11, v2
.LBB23_11:                              ;   in Loop: Header=BB23_3 Depth=1
	s_or_b32 exec_lo, exec_lo, s0
	s_delay_alu instid0(VALU_DEP_1) | instskip(SKIP_1) | instid1(VALU_DEP_1)
	v_or_b32_e32 v3, s11, v11
                                        ; implicit-def: $vgpr12_vgpr13
	s_mov_b32 s0, exec_lo
	v_cmpx_ne_u64_e32 0, v[2:3]
	s_xor_b32 s25, exec_lo, s0
	s_cbranch_execz .LBB23_13
; %bb.12:                               ;   in Loop: Header=BB23_3 Depth=1
	s_ashr_i32 s28, s11, 31
	v_dual_mov_b32 v19, v2 :: v_dual_ashrrev_i32 v12, 31, v11
	s_mov_b32 s29, s28
	v_mov_b32_e32 v23, v2
	s_add_nc_u64 s[30:31], s[10:11], s[28:29]
	s_delay_alu instid0(VALU_DEP_2)
	v_mov_b32_e32 v13, v12
	s_xor_b64 s[30:31], s[30:31], s[28:29]
	v_mov_b32_e32 v27, v2
	s_cvt_f32_u32 s0, s30
	s_cvt_f32_u32 s2, s31
	s_sub_nc_u64 s[36:37], 0, s[30:31]
	v_add_nc_u64_e32 v[16:17], v[10:11], v[12:13]
	s_delay_alu instid0(SALU_CYCLE_1) | instskip(NEXT) | instid1(SALU_CYCLE_3)
	s_fmamk_f32 s0, s2, 0x4f800000, s0
	v_s_rcp_f32 s0, s0
	s_delay_alu instid0(VALU_DEP_1) | instskip(NEXT) | instid1(VALU_DEP_2)
	v_xor_b32_e32 v18, v16, v12
	v_xor_b32_e32 v22, v17, v12
	s_delay_alu instid0(TRANS32_DEP_1) | instskip(NEXT) | instid1(SALU_CYCLE_3)
	s_mul_f32 s0, s0, 0x5f7ffffc
	s_mul_f32 s2, s0, 0x2f800000
	s_delay_alu instid0(SALU_CYCLE_3) | instskip(NEXT) | instid1(SALU_CYCLE_3)
	s_trunc_f32 s2, s2
	s_fmamk_f32 s0, s2, 0xcf800000, s0
	s_cvt_u32_f32 s35, s2
	s_delay_alu instid0(SALU_CYCLE_2) | instskip(NEXT) | instid1(SALU_CYCLE_3)
	s_cvt_u32_f32 s34, s0
	s_mul_u64 s[38:39], s[36:37], s[34:35]
	s_delay_alu instid0(SALU_CYCLE_1)
	s_mul_hi_u32 s41, s34, s39
	s_mul_i32 s40, s34, s39
	s_mul_hi_u32 s2, s34, s38
	s_mul_i32 s27, s35, s38
	s_add_nc_u64 s[40:41], s[2:3], s[40:41]
	s_mul_hi_u32 s0, s35, s38
	s_mul_hi_u32 s29, s35, s39
	s_add_co_u32 s2, s40, s27
	s_add_co_ci_u32 s2, s41, s0
	s_mul_i32 s38, s35, s39
	s_add_co_ci_u32 s39, s29, 0
	s_delay_alu instid0(SALU_CYCLE_1) | instskip(NEXT) | instid1(SALU_CYCLE_1)
	s_add_nc_u64 s[38:39], s[2:3], s[38:39]
	s_add_co_u32 s34, s34, s38
	s_cselect_b32 s0, -1, 0
	s_delay_alu instid0(SALU_CYCLE_1) | instskip(SKIP_1) | instid1(SALU_CYCLE_1)
	s_cmp_lg_u32 s0, 0
	s_add_co_ci_u32 s35, s35, s39
	s_mul_u64 s[36:37], s[36:37], s[34:35]
	s_delay_alu instid0(SALU_CYCLE_1)
	s_mul_hi_u32 s39, s34, s37
	s_mul_i32 s38, s34, s37
	s_mul_hi_u32 s2, s34, s36
	s_mul_i32 s27, s35, s36
	s_add_nc_u64 s[38:39], s[2:3], s[38:39]
	s_mul_hi_u32 s0, s35, s36
	s_mul_hi_u32 s29, s35, s37
	s_add_co_u32 s2, s38, s27
	s_add_co_ci_u32 s2, s39, s0
	s_mul_i32 s36, s35, s37
	s_add_co_ci_u32 s37, s29, 0
	s_delay_alu instid0(SALU_CYCLE_1) | instskip(NEXT) | instid1(SALU_CYCLE_1)
	s_add_nc_u64 s[36:37], s[2:3], s[36:37]
	s_add_co_u32 s0, s34, s36
	s_cselect_b32 s2, -1, 0
	v_mul_hi_u32 v26, v18, s0
	s_cmp_lg_u32 s2, 0
	s_add_co_ci_u32 s2, s35, s37
	s_and_b64 s[34:35], s[0:1], s[6:7]
	v_mul_u64_e32 v[20:21], s[2:3], v[18:19]
	v_mul_u64_e32 v[16:17], s[34:35], v[22:23]
	;; [unrolled: 1-line block ×3, first 2 shown]
	s_delay_alu instid0(VALU_DEP_3) | instskip(NEXT) | instid1(VALU_DEP_1)
	v_add_nc_u64_e32 v[20:21], v[26:27], v[20:21]
	v_add_co_u32 v3, vcc_lo, v20, v16
	s_delay_alu instid0(VALU_DEP_2) | instskip(NEXT) | instid1(VALU_DEP_4)
	v_add_co_ci_u32_e32 v26, vcc_lo, v21, v17, vcc_lo
	v_add_co_ci_u32_e32 v25, vcc_lo, 0, v25, vcc_lo
	s_delay_alu instid0(VALU_DEP_1) | instskip(NEXT) | instid1(VALU_DEP_1)
	v_add_nc_u64_e32 v[16:17], v[26:27], v[24:25]
	v_mul_u64_e32 v[20:21], s[30:31], v[16:17]
	s_delay_alu instid0(VALU_DEP_1) | instskip(NEXT) | instid1(VALU_DEP_2)
	v_sub_nc_u32_e32 v3, v22, v21
	v_sub_co_u32 v11, vcc_lo, v18, v20
	s_delay_alu instid0(VALU_DEP_1) | instskip(NEXT) | instid1(VALU_DEP_3)
	v_sub_co_ci_u32_e64 v15, null, v22, v21, vcc_lo
	v_subrev_co_ci_u32_e64 v3, null, s31, v3, vcc_lo
	s_delay_alu instid0(VALU_DEP_3) | instskip(SKIP_1) | instid1(VALU_DEP_3)
	v_sub_co_u32 v13, s0, v11, s30
	v_add_nc_u64_e32 v[20:21], 1, v[16:17]
	v_subrev_co_ci_u32_e64 v3, null, 0, v3, s0
	s_delay_alu instid0(VALU_DEP_3) | instskip(SKIP_1) | instid1(VALU_DEP_3)
	v_cmp_le_u32_e32 vcc_lo, s30, v13
	v_cndmask_b32_e64 v13, 0, -1, vcc_lo
	v_cmp_le_u32_e32 vcc_lo, s31, v3
	v_cndmask_b32_e64 v18, 0, -1, vcc_lo
	;; [unrolled: 2-line block ×4, first 2 shown]
	v_cmp_eq_u32_e32 vcc_lo, s31, v3
	v_cndmask_b32_e32 v3, v18, v13, vcc_lo
	v_cmp_eq_u32_e32 vcc_lo, s31, v15
	v_add_nc_u64_e32 v[18:19], 2, v[16:17]
	v_cndmask_b32_e32 v11, v22, v11, vcc_lo
	s_delay_alu instid0(VALU_DEP_4) | instskip(NEXT) | instid1(VALU_DEP_2)
	v_cmp_ne_u32_e32 vcc_lo, 0, v3
	v_cmp_ne_u32_e64 s0, 0, v11
	s_delay_alu instid0(VALU_DEP_4) | instskip(NEXT) | instid1(VALU_DEP_1)
	v_dual_cndmask_b32 v3, v21, v19, vcc_lo :: v_dual_cndmask_b32 v11, v20, v18, vcc_lo
	v_dual_cndmask_b32 v3, v17, v3, s0 :: v_dual_bitop2_b32 v12, s28, v12 bitop3:0x14
	s_delay_alu instid0(VALU_DEP_1) | instskip(NEXT) | instid1(VALU_DEP_1)
	v_dual_cndmask_b32 v11, v16, v11, s0 :: v_dual_bitop2_b32 v17, v3, v12 bitop3:0x14
	v_dual_mov_b32 v13, v12 :: v_dual_bitop2_b32 v16, v11, v12 bitop3:0x14
	s_delay_alu instid0(VALU_DEP_1)
	v_sub_nc_u64_e32 v[12:13], v[16:17], v[12:13]
.LBB23_13:                              ;   in Loop: Header=BB23_3 Depth=1
	s_and_not1_saveexec_b32 s0, s25
	s_cbranch_execz .LBB23_2
; %bb.14:                               ;   in Loop: Header=BB23_3 Depth=1
	v_cvt_f32_u32_e32 v3, s10
	s_sub_co_i32 s2, 0, s10
	s_delay_alu instid0(VALU_DEP_1) | instskip(SKIP_1) | instid1(TRANS32_DEP_1)
	v_rcp_iflag_f32_e32 v3, v3
	v_nop
	v_mul_f32_e32 v3, 0x4f7ffffe, v3
	s_delay_alu instid0(VALU_DEP_1) | instskip(NEXT) | instid1(VALU_DEP_1)
	v_cvt_u32_f32_e32 v3, v3
	v_mul_lo_u32 v11, s2, v3
	s_delay_alu instid0(VALU_DEP_1) | instskip(NEXT) | instid1(VALU_DEP_1)
	v_mul_hi_u32 v11, v3, v11
	v_add_nc_u32_e32 v3, v3, v11
	s_delay_alu instid0(VALU_DEP_1) | instskip(NEXT) | instid1(VALU_DEP_1)
	v_mul_hi_u32 v3, v10, v3
	v_mul_lo_u32 v11, v3, s10
	s_delay_alu instid0(VALU_DEP_1) | instskip(NEXT) | instid1(VALU_DEP_1)
	v_sub_nc_u32_e32 v11, v10, v11
	v_subrev_nc_u32_e32 v13, s10, v11
	v_cmp_le_u32_e32 vcc_lo, s10, v11
	s_delay_alu instid0(VALU_DEP_2) | instskip(NEXT) | instid1(VALU_DEP_1)
	v_dual_cndmask_b32 v11, v11, v13 :: v_dual_add_nc_u32 v12, 1, v3
	v_cndmask_b32_e32 v3, v3, v12, vcc_lo
	s_delay_alu instid0(VALU_DEP_2) | instskip(NEXT) | instid1(VALU_DEP_2)
	v_cmp_le_u32_e32 vcc_lo, s10, v11
	v_add_nc_u32_e32 v12, 1, v3
	s_delay_alu instid0(VALU_DEP_1)
	v_cndmask_b32_e32 v12, v3, v12, vcc_lo
	s_branch .LBB23_2
.LBB23_15:
	s_endpgm
	.section	.rodata,"a",@progbits
	.p2align	6, 0x0
	.amdhsa_kernel _ZN2at6native31max_unpooling2d_backward_kernelIdEEvlPKT_PKllllllPS2_
		.amdhsa_group_segment_fixed_size 0
		.amdhsa_private_segment_fixed_size 0
		.amdhsa_kernarg_size 328
		.amdhsa_user_sgpr_count 2
		.amdhsa_user_sgpr_dispatch_ptr 0
		.amdhsa_user_sgpr_queue_ptr 0
		.amdhsa_user_sgpr_kernarg_segment_ptr 1
		.amdhsa_user_sgpr_dispatch_id 0
		.amdhsa_user_sgpr_kernarg_preload_length 0
		.amdhsa_user_sgpr_kernarg_preload_offset 0
		.amdhsa_user_sgpr_private_segment_size 0
		.amdhsa_wavefront_size32 1
		.amdhsa_uses_dynamic_stack 0
		.amdhsa_enable_private_segment 0
		.amdhsa_system_sgpr_workgroup_id_x 1
		.amdhsa_system_sgpr_workgroup_id_y 0
		.amdhsa_system_sgpr_workgroup_id_z 0
		.amdhsa_system_sgpr_workgroup_info 0
		.amdhsa_system_vgpr_workitem_id 0
		.amdhsa_next_free_vgpr 28
		.amdhsa_next_free_sgpr 42
		.amdhsa_named_barrier_count 0
		.amdhsa_reserve_vcc 1
		.amdhsa_float_round_mode_32 0
		.amdhsa_float_round_mode_16_64 0
		.amdhsa_float_denorm_mode_32 3
		.amdhsa_float_denorm_mode_16_64 3
		.amdhsa_fp16_overflow 0
		.amdhsa_memory_ordered 1
		.amdhsa_forward_progress 1
		.amdhsa_inst_pref_size 21
		.amdhsa_round_robin_scheduling 0
		.amdhsa_exception_fp_ieee_invalid_op 0
		.amdhsa_exception_fp_denorm_src 0
		.amdhsa_exception_fp_ieee_div_zero 0
		.amdhsa_exception_fp_ieee_overflow 0
		.amdhsa_exception_fp_ieee_underflow 0
		.amdhsa_exception_fp_ieee_inexact 0
		.amdhsa_exception_int_div_zero 0
	.end_amdhsa_kernel
	.section	.text._ZN2at6native31max_unpooling2d_backward_kernelIdEEvlPKT_PKllllllPS2_,"axG",@progbits,_ZN2at6native31max_unpooling2d_backward_kernelIdEEvlPKT_PKllllllPS2_,comdat
.Lfunc_end23:
	.size	_ZN2at6native31max_unpooling2d_backward_kernelIdEEvlPKT_PKllllllPS2_, .Lfunc_end23-_ZN2at6native31max_unpooling2d_backward_kernelIdEEvlPKT_PKllllllPS2_
                                        ; -- End function
	.set _ZN2at6native31max_unpooling2d_backward_kernelIdEEvlPKT_PKllllllPS2_.num_vgpr, 28
	.set _ZN2at6native31max_unpooling2d_backward_kernelIdEEvlPKT_PKllllllPS2_.num_agpr, 0
	.set _ZN2at6native31max_unpooling2d_backward_kernelIdEEvlPKT_PKllllllPS2_.numbered_sgpr, 42
	.set _ZN2at6native31max_unpooling2d_backward_kernelIdEEvlPKT_PKllllllPS2_.num_named_barrier, 0
	.set _ZN2at6native31max_unpooling2d_backward_kernelIdEEvlPKT_PKllllllPS2_.private_seg_size, 0
	.set _ZN2at6native31max_unpooling2d_backward_kernelIdEEvlPKT_PKllllllPS2_.uses_vcc, 1
	.set _ZN2at6native31max_unpooling2d_backward_kernelIdEEvlPKT_PKllllllPS2_.uses_flat_scratch, 0
	.set _ZN2at6native31max_unpooling2d_backward_kernelIdEEvlPKT_PKllllllPS2_.has_dyn_sized_stack, 0
	.set _ZN2at6native31max_unpooling2d_backward_kernelIdEEvlPKT_PKllllllPS2_.has_recursion, 0
	.set _ZN2at6native31max_unpooling2d_backward_kernelIdEEvlPKT_PKllllllPS2_.has_indirect_call, 0
	.section	.AMDGPU.csdata,"",@progbits
; Kernel info:
; codeLenInByte = 2592
; TotalNumSgprs: 44
; NumVgprs: 28
; ScratchSize: 0
; MemoryBound: 0
; FloatMode: 240
; IeeeMode: 1
; LDSByteSize: 0 bytes/workgroup (compile time only)
; SGPRBlocks: 0
; VGPRBlocks: 1
; NumSGPRsForWavesPerEU: 44
; NumVGPRsForWavesPerEU: 28
; NamedBarCnt: 0
; Occupancy: 16
; WaveLimiterHint : 1
; COMPUTE_PGM_RSRC2:SCRATCH_EN: 0
; COMPUTE_PGM_RSRC2:USER_SGPR: 2
; COMPUTE_PGM_RSRC2:TRAP_HANDLER: 0
; COMPUTE_PGM_RSRC2:TGID_X_EN: 1
; COMPUTE_PGM_RSRC2:TGID_Y_EN: 0
; COMPUTE_PGM_RSRC2:TGID_Z_EN: 0
; COMPUTE_PGM_RSRC2:TIDIG_COMP_CNT: 0
	.section	.text._ZN2at6native31max_unpooling2d_backward_kernelIfEEvlPKT_PKllllllPS2_,"axG",@progbits,_ZN2at6native31max_unpooling2d_backward_kernelIfEEvlPKT_PKllllllPS2_,comdat
	.protected	_ZN2at6native31max_unpooling2d_backward_kernelIfEEvlPKT_PKllllllPS2_ ; -- Begin function _ZN2at6native31max_unpooling2d_backward_kernelIfEEvlPKT_PKllllllPS2_
	.globl	_ZN2at6native31max_unpooling2d_backward_kernelIfEEvlPKT_PKllllllPS2_
	.p2align	8
	.type	_ZN2at6native31max_unpooling2d_backward_kernelIfEEvlPKT_PKllllllPS2_,@function
_ZN2at6native31max_unpooling2d_backward_kernelIfEEvlPKT_PKllllllPS2_: ; @_ZN2at6native31max_unpooling2d_backward_kernelIfEEvlPKT_PKllllllPS2_
; %bb.0:
	s_load_b32 s2, s[0:1], 0x54
	s_bfe_u32 s4, ttmp6, 0x4000c
	v_mov_b32_e32 v2, 0
	s_add_co_i32 s21, s4, 1
	s_load_b512 s[4:19], s[0:1], 0x0
	s_and_b32 s3, ttmp6, 15
	s_mul_i32 s21, ttmp9, s21
	s_getreg_b32 s20, hwreg(HW_REG_IB_STS2, 6, 4)
	v_mov_b32_e32 v1, v2
	s_add_co_i32 s3, s3, s21
	s_wait_kmcnt 0x0
	s_and_b32 s2, s2, 0xffff
	s_cmp_eq_u32 s20, 0
	s_mov_b32 s20, exec_lo
	s_cselect_b32 s3, ttmp9, s3
	s_delay_alu instid0(SALU_CYCLE_1) | instskip(SKIP_1) | instid1(VALU_DEP_1)
	v_mad_nc_u64_u32 v[0:1], s2, s3, v[0:1]
	s_mov_b32 s3, 0
	v_cmpx_gt_i64_e64 s[4:5], v[0:1]
	s_cbranch_execz .LBB24_15
; %bb.1:
	v_cvt_f32_u32_e32 v3, s14
	s_sub_co_i32 s22, 0, s14
	s_add_nc_u64 s[20:21], s[0:1], 0x48
	v_mov_b64_e32 v[4:5], s[6:7]
	s_load_b32 s23, s[20:21], 0x0
	v_rcp_iflag_f32_e32 v3, v3
	s_wait_xcnt 0x0
	s_load_b64 s[20:21], s[0:1], 0x40
	s_mul_u64 s[16:17], s[18:19], s[16:17]
	s_mov_b32 s19, s3
	s_mov_b64 s[6:7], 0xffffffff
	s_ashr_i32 s24, s15, 31
	s_ashr_i32 s26, s13, 31
	v_nop
	v_mul_f32_e32 v3, 0x4f7ffffe, v3
	s_wait_xcnt 0x0
	s_mov_b32 s1, 0
	s_delay_alu instid0(VALU_DEP_1) | instskip(NEXT) | instid1(VALU_DEP_1)
	v_cvt_u32_f32_e32 v6, v3
	v_mul_lo_u32 v3, s22, v6
	s_mov_b32 s22, s3
	s_wait_kmcnt 0x0
	s_mul_i32 s18, s23, s2
	s_delay_alu instid0(SALU_CYCLE_1) | instskip(NEXT) | instid1(VALU_DEP_1)
	s_mov_b32 s23, s18
	v_mul_hi_u32 v7, v6, v3
	s_delay_alu instid0(VALU_DEP_1) | instskip(NEXT) | instid1(VALU_DEP_1)
	v_dual_mov_b32 v3, v0 :: v_dual_add_nc_u32 v14, v6, v7
	v_mov_b64_e32 v[6:7], v[2:3]
	s_branch .LBB24_3
.LBB24_2:                               ;   in Loop: Header=BB24_3 Depth=1
	s_or_b32 exec_lo, exec_lo, s0
	v_lshl_add_u64 v[16:17], v[8:9], 3, s[8:9]
	s_delay_alu instid0(VALU_DEP_2)
	v_mul_lo_u32 v11, v12, s10
	v_add_nc_u64_e32 v[0:1], s[18:19], v[0:1]
	v_add_nc_u64_e32 v[6:7], s[22:23], v[6:7]
	v_lshl_add_u64 v[8:9], v[8:9], 2, s[20:21]
	global_load_b32 v3, v[16:17], off
	v_ashrrev_i32_e32 v13, 31, v12
	v_cmp_le_i64_e32 vcc_lo, s[4:5], v[0:1]
	v_sub_nc_u32_e32 v10, v10, v11
	s_or_b32 s1, vcc_lo, s1
	s_delay_alu instid0(VALU_DEP_1) | instskip(NEXT) | instid1(VALU_DEP_1)
	v_ashrrev_i32_e32 v11, 31, v10
	v_mad_nc_u64_u32 v[10:11], v12, s10, v[10:11]
	s_delay_alu instid0(VALU_DEP_1) | instskip(NEXT) | instid1(VALU_DEP_1)
	v_mad_u32 v11, v13, s10, v11
	v_mad_u32 v11, v12, s11, v11
	s_delay_alu instid0(VALU_DEP_1) | instskip(NEXT) | instid1(VALU_DEP_1)
	v_mul_u64_e32 v[10:11], s[16:17], v[10:11]
	v_lshl_add_u64 v[4:5], v[10:11], 2, v[4:5]
	s_wait_loadcnt 0x0
	v_ashrrev_i64 v[12:13], 30, v[2:3]
	s_delay_alu instid0(VALU_DEP_1)
	v_add_nc_u64_e32 v[10:11], v[4:5], v[12:13]
	global_load_b32 v3, v[10:11], off
	s_wait_loadcnt 0x0
	global_store_b32 v[8:9], v3, off
	s_wait_xcnt 0x0
	s_and_not1_b32 exec_lo, exec_lo, s1
	s_cbranch_execz .LBB24_15
.LBB24_3:                               ; =>This Inner Loop Header: Depth=1
	s_delay_alu instid0(VALU_DEP_1) | instskip(SKIP_1) | instid1(VALU_DEP_1)
	v_dual_mov_b32 v8, v7 :: v_dual_ashrrev_i32 v9, 31, v7
                                        ; implicit-def: $vgpr12_vgpr13
	s_mov_b32 s0, exec_lo
	v_or_b32_e32 v3, s15, v9
	s_delay_alu instid0(VALU_DEP_1)
	v_cmpx_ne_u64_e32 0, v[2:3]
	s_xor_b32 s27, exec_lo, s0
	s_cbranch_execz .LBB24_5
; %bb.4:                                ;   in Loop: Header=BB24_3 Depth=1
	s_mov_b32 s25, s24
	v_dual_mov_b32 v17, v2 :: v_dual_ashrrev_i32 v10, 31, v9
	s_add_nc_u64 s[28:29], s[14:15], s[24:25]
	s_delay_alu instid0(SALU_CYCLE_1) | instskip(NEXT) | instid1(VALU_DEP_1)
	s_xor_b64 s[28:29], s[28:29], s[24:25]
	v_mov_b32_e32 v11, v10
	s_cvt_f32_u32 s0, s28
	s_cvt_f32_u32 s2, s29
	s_sub_nc_u64 s[34:35], 0, s[28:29]
	s_delay_alu instid0(VALU_DEP_1) | instskip(NEXT) | instid1(SALU_CYCLE_1)
	v_add_nc_u64_e32 v[12:13], v[8:9], v[10:11]
	s_fmamk_f32 s0, s2, 0x4f800000, s0
	v_mov_b32_e32 v21, v2
	s_delay_alu instid0(SALU_CYCLE_2) | instskip(NEXT) | instid1(VALU_DEP_2)
	v_s_rcp_f32 s0, s0
	v_xor_b32_e32 v16, v12, v10
	s_delay_alu instid0(VALU_DEP_3) | instskip(NEXT) | instid1(TRANS32_DEP_1)
	v_dual_mov_b32 v25, v2 :: v_dual_bitop2_b32 v20, v13, v10 bitop3:0x14
	s_mul_f32 s0, s0, 0x5f7ffffc
	s_delay_alu instid0(SALU_CYCLE_3) | instskip(NEXT) | instid1(SALU_CYCLE_3)
	s_mul_f32 s2, s0, 0x2f800000
	s_trunc_f32 s2, s2
	s_delay_alu instid0(SALU_CYCLE_3) | instskip(SKIP_1) | instid1(SALU_CYCLE_2)
	s_fmamk_f32 s0, s2, 0xcf800000, s0
	s_cvt_u32_f32 s31, s2
	s_cvt_u32_f32 s30, s0
	s_delay_alu instid0(SALU_CYCLE_3) | instskip(NEXT) | instid1(SALU_CYCLE_1)
	s_mul_u64 s[36:37], s[34:35], s[30:31]
	s_mul_hi_u32 s39, s30, s37
	s_mul_i32 s38, s30, s37
	s_mul_hi_u32 s2, s30, s36
	s_mul_i32 s25, s31, s36
	s_add_nc_u64 s[38:39], s[2:3], s[38:39]
	s_mul_hi_u32 s0, s31, s36
	s_mul_hi_u32 s33, s31, s37
	s_add_co_u32 s2, s38, s25
	s_add_co_ci_u32 s2, s39, s0
	s_mul_i32 s36, s31, s37
	s_add_co_ci_u32 s37, s33, 0
	s_delay_alu instid0(SALU_CYCLE_1) | instskip(NEXT) | instid1(SALU_CYCLE_1)
	s_add_nc_u64 s[36:37], s[2:3], s[36:37]
	s_add_co_u32 s30, s30, s36
	s_cselect_b32 s0, -1, 0
	s_delay_alu instid0(SALU_CYCLE_1) | instskip(SKIP_1) | instid1(SALU_CYCLE_1)
	s_cmp_lg_u32 s0, 0
	s_add_co_ci_u32 s31, s31, s37
	s_mul_u64 s[34:35], s[34:35], s[30:31]
	s_delay_alu instid0(SALU_CYCLE_1)
	s_mul_hi_u32 s37, s30, s35
	s_mul_i32 s36, s30, s35
	s_mul_hi_u32 s2, s30, s34
	s_mul_i32 s25, s31, s34
	s_add_nc_u64 s[36:37], s[2:3], s[36:37]
	s_mul_hi_u32 s0, s31, s34
	s_mul_hi_u32 s33, s31, s35
	s_add_co_u32 s2, s36, s25
	s_add_co_ci_u32 s2, s37, s0
	s_mul_i32 s34, s31, s35
	s_add_co_ci_u32 s35, s33, 0
	s_delay_alu instid0(SALU_CYCLE_1) | instskip(NEXT) | instid1(SALU_CYCLE_1)
	s_add_nc_u64 s[34:35], s[2:3], s[34:35]
	s_add_co_u32 s0, s30, s34
	s_cselect_b32 s2, -1, 0
	v_mul_hi_u32 v24, v16, s0
	s_cmp_lg_u32 s2, 0
	s_add_co_ci_u32 s2, s31, s35
	s_and_b64 s[30:31], s[0:1], s[6:7]
	v_mul_u64_e32 v[18:19], s[2:3], v[16:17]
	v_mul_u64_e32 v[12:13], s[30:31], v[20:21]
	;; [unrolled: 1-line block ×3, first 2 shown]
	s_delay_alu instid0(VALU_DEP_3) | instskip(NEXT) | instid1(VALU_DEP_1)
	v_add_nc_u64_e32 v[18:19], v[24:25], v[18:19]
	v_add_co_u32 v3, vcc_lo, v18, v12
	s_delay_alu instid0(VALU_DEP_2) | instskip(NEXT) | instid1(VALU_DEP_4)
	v_add_co_ci_u32_e32 v24, vcc_lo, v19, v13, vcc_lo
	v_add_co_ci_u32_e32 v23, vcc_lo, 0, v23, vcc_lo
	s_delay_alu instid0(VALU_DEP_1) | instskip(NEXT) | instid1(VALU_DEP_1)
	v_add_nc_u64_e32 v[12:13], v[24:25], v[22:23]
	v_mul_u64_e32 v[18:19], s[28:29], v[12:13]
	s_delay_alu instid0(VALU_DEP_1) | instskip(NEXT) | instid1(VALU_DEP_2)
	v_sub_nc_u32_e32 v3, v20, v19
	v_sub_co_u32 v11, vcc_lo, v16, v18
	s_delay_alu instid0(VALU_DEP_1) | instskip(NEXT) | instid1(VALU_DEP_3)
	v_sub_co_ci_u32_e64 v20, null, v20, v19, vcc_lo
	v_subrev_co_ci_u32_e64 v3, null, s29, v3, vcc_lo
	s_delay_alu instid0(VALU_DEP_3) | instskip(SKIP_1) | instid1(VALU_DEP_3)
	v_sub_co_u32 v15, s0, v11, s28
	v_add_nc_u64_e32 v[18:19], 1, v[12:13]
	v_subrev_co_ci_u32_e64 v3, null, 0, v3, s0
	s_delay_alu instid0(VALU_DEP_3) | instskip(SKIP_1) | instid1(VALU_DEP_3)
	v_cmp_le_u32_e32 vcc_lo, s28, v15
	v_cndmask_b32_e64 v15, 0, -1, vcc_lo
	v_cmp_le_u32_e32 vcc_lo, s29, v3
	v_cndmask_b32_e64 v16, 0, -1, vcc_lo
	v_cmp_le_u32_e32 vcc_lo, s28, v11
	v_cndmask_b32_e64 v11, 0, -1, vcc_lo
	v_cmp_le_u32_e32 vcc_lo, s29, v20
	v_cndmask_b32_e64 v21, 0, -1, vcc_lo
	v_cmp_eq_u32_e32 vcc_lo, s29, v3
	v_cndmask_b32_e32 v3, v16, v15, vcc_lo
	v_cmp_eq_u32_e32 vcc_lo, s29, v20
	v_add_nc_u64_e32 v[16:17], 2, v[12:13]
	v_cndmask_b32_e32 v11, v21, v11, vcc_lo
	s_delay_alu instid0(VALU_DEP_4) | instskip(NEXT) | instid1(VALU_DEP_3)
	v_cmp_ne_u32_e32 vcc_lo, 0, v3
	v_cndmask_b32_e32 v3, v19, v17, vcc_lo
	s_delay_alu instid0(VALU_DEP_3) | instskip(SKIP_1) | instid1(VALU_DEP_2)
	v_cmp_ne_u32_e64 s0, 0, v11
	v_dual_cndmask_b32 v11, v18, v16, vcc_lo :: v_dual_bitop2_b32 v10, s24, v10 bitop3:0x14
	v_cndmask_b32_e64 v3, v13, v3, s0
	s_delay_alu instid0(VALU_DEP_2) | instskip(NEXT) | instid1(VALU_DEP_2)
	v_dual_cndmask_b32 v12, v12, v11, s0 :: v_dual_mov_b32 v11, v10
	v_xor_b32_e32 v13, v3, v10
	s_delay_alu instid0(VALU_DEP_2) | instskip(NEXT) | instid1(VALU_DEP_1)
	v_xor_b32_e32 v12, v12, v10
	v_sub_nc_u64_e32 v[12:13], v[12:13], v[10:11]
.LBB24_5:                               ;   in Loop: Header=BB24_3 Depth=1
	s_and_not1_saveexec_b32 s0, s27
	s_cbranch_execz .LBB24_7
; %bb.6:                                ;   in Loop: Header=BB24_3 Depth=1
	v_mul_hi_u32 v3, v7, v14
	v_mov_b32_e32 v13, v2
	s_delay_alu instid0(VALU_DEP_2) | instskip(NEXT) | instid1(VALU_DEP_1)
	v_mul_lo_u32 v10, v3, s14
	v_dual_add_nc_u32 v11, 1, v3 :: v_dual_sub_nc_u32 v10, v7, v10
	s_delay_alu instid0(VALU_DEP_1) | instskip(SKIP_1) | instid1(VALU_DEP_2)
	v_subrev_nc_u32_e32 v12, s14, v10
	v_cmp_le_u32_e32 vcc_lo, s14, v10
	v_dual_cndmask_b32 v10, v10, v12 :: v_dual_cndmask_b32 v3, v3, v11
	s_delay_alu instid0(VALU_DEP_1) | instskip(NEXT) | instid1(VALU_DEP_2)
	v_cmp_le_u32_e32 vcc_lo, s14, v10
	v_add_nc_u32_e32 v11, 1, v3
	s_delay_alu instid0(VALU_DEP_1)
	v_cndmask_b32_e32 v12, v3, v11, vcc_lo
.LBB24_7:                               ;   in Loop: Header=BB24_3 Depth=1
	s_or_b32 exec_lo, exec_lo, s0
	s_delay_alu instid0(VALU_DEP_1) | instskip(SKIP_1) | instid1(VALU_DEP_1)
	v_or_b32_e32 v3, s13, v13
                                        ; implicit-def: $vgpr10_vgpr11
	s_mov_b32 s0, exec_lo
	v_cmpx_ne_u64_e32 0, v[2:3]
	s_xor_b32 s25, exec_lo, s0
	s_cbranch_execz .LBB24_9
; %bb.8:                                ;   in Loop: Header=BB24_3 Depth=1
	s_mov_b32 s27, s26
	v_dual_mov_b32 v17, v2 :: v_dual_ashrrev_i32 v10, 31, v13
	s_add_nc_u64 s[28:29], s[12:13], s[26:27]
	s_delay_alu instid0(SALU_CYCLE_1) | instskip(NEXT) | instid1(VALU_DEP_1)
	s_xor_b64 s[28:29], s[28:29], s[26:27]
	v_mov_b32_e32 v11, v10
	s_cvt_f32_u32 s0, s28
	s_cvt_f32_u32 s2, s29
	s_sub_nc_u64 s[34:35], 0, s[28:29]
	s_delay_alu instid0(VALU_DEP_1) | instskip(NEXT) | instid1(SALU_CYCLE_1)
	v_add_nc_u64_e32 v[12:13], v[12:13], v[10:11]
	s_fmamk_f32 s0, s2, 0x4f800000, s0
	v_mov_b32_e32 v21, v2
	s_delay_alu instid0(SALU_CYCLE_2) | instskip(NEXT) | instid1(VALU_DEP_2)
	v_s_rcp_f32 s0, s0
	v_xor_b32_e32 v16, v12, v10
	s_delay_alu instid0(VALU_DEP_3) | instskip(NEXT) | instid1(TRANS32_DEP_1)
	v_dual_mov_b32 v25, v2 :: v_dual_bitop2_b32 v20, v13, v10 bitop3:0x14
	s_mul_f32 s0, s0, 0x5f7ffffc
	s_delay_alu instid0(SALU_CYCLE_3) | instskip(NEXT) | instid1(SALU_CYCLE_3)
	s_mul_f32 s2, s0, 0x2f800000
	s_trunc_f32 s2, s2
	s_delay_alu instid0(SALU_CYCLE_3) | instskip(SKIP_1) | instid1(SALU_CYCLE_2)
	s_fmamk_f32 s0, s2, 0xcf800000, s0
	s_cvt_u32_f32 s31, s2
	s_cvt_u32_f32 s30, s0
	s_delay_alu instid0(SALU_CYCLE_3) | instskip(NEXT) | instid1(SALU_CYCLE_1)
	s_mul_u64 s[36:37], s[34:35], s[30:31]
	s_mul_hi_u32 s39, s30, s37
	s_mul_i32 s38, s30, s37
	s_mul_hi_u32 s2, s30, s36
	s_mul_i32 s27, s31, s36
	s_add_nc_u64 s[38:39], s[2:3], s[38:39]
	s_mul_hi_u32 s0, s31, s36
	s_mul_hi_u32 s33, s31, s37
	s_add_co_u32 s2, s38, s27
	s_add_co_ci_u32 s2, s39, s0
	s_mul_i32 s36, s31, s37
	s_add_co_ci_u32 s37, s33, 0
	s_delay_alu instid0(SALU_CYCLE_1) | instskip(NEXT) | instid1(SALU_CYCLE_1)
	s_add_nc_u64 s[36:37], s[2:3], s[36:37]
	s_add_co_u32 s30, s30, s36
	s_cselect_b32 s0, -1, 0
	s_delay_alu instid0(SALU_CYCLE_1) | instskip(SKIP_1) | instid1(SALU_CYCLE_1)
	s_cmp_lg_u32 s0, 0
	s_add_co_ci_u32 s31, s31, s37
	s_mul_u64 s[34:35], s[34:35], s[30:31]
	s_delay_alu instid0(SALU_CYCLE_1)
	s_mul_hi_u32 s37, s30, s35
	s_mul_i32 s36, s30, s35
	s_mul_hi_u32 s2, s30, s34
	s_mul_i32 s27, s31, s34
	s_add_nc_u64 s[36:37], s[2:3], s[36:37]
	s_mul_hi_u32 s0, s31, s34
	s_mul_hi_u32 s33, s31, s35
	s_add_co_u32 s2, s36, s27
	s_add_co_ci_u32 s2, s37, s0
	s_mul_i32 s34, s31, s35
	s_add_co_ci_u32 s35, s33, 0
	s_delay_alu instid0(SALU_CYCLE_1) | instskip(NEXT) | instid1(SALU_CYCLE_1)
	s_add_nc_u64 s[34:35], s[2:3], s[34:35]
	s_add_co_u32 s0, s30, s34
	s_cselect_b32 s2, -1, 0
	v_mul_hi_u32 v24, v16, s0
	s_cmp_lg_u32 s2, 0
	s_add_co_ci_u32 s2, s31, s35
	s_and_b64 s[30:31], s[0:1], s[6:7]
	v_mul_u64_e32 v[18:19], s[2:3], v[16:17]
	v_mul_u64_e32 v[12:13], s[30:31], v[20:21]
	;; [unrolled: 1-line block ×3, first 2 shown]
	s_delay_alu instid0(VALU_DEP_3) | instskip(NEXT) | instid1(VALU_DEP_1)
	v_add_nc_u64_e32 v[18:19], v[24:25], v[18:19]
	v_add_co_u32 v3, vcc_lo, v18, v12
	s_delay_alu instid0(VALU_DEP_2) | instskip(NEXT) | instid1(VALU_DEP_4)
	v_add_co_ci_u32_e32 v24, vcc_lo, v19, v13, vcc_lo
	v_add_co_ci_u32_e32 v23, vcc_lo, 0, v23, vcc_lo
	s_delay_alu instid0(VALU_DEP_1) | instskip(NEXT) | instid1(VALU_DEP_1)
	v_add_nc_u64_e32 v[12:13], v[24:25], v[22:23]
	v_mul_u64_e32 v[18:19], s[28:29], v[12:13]
	s_delay_alu instid0(VALU_DEP_1) | instskip(NEXT) | instid1(VALU_DEP_2)
	v_sub_nc_u32_e32 v3, v20, v19
	v_sub_co_u32 v11, vcc_lo, v16, v18
	s_delay_alu instid0(VALU_DEP_1) | instskip(NEXT) | instid1(VALU_DEP_3)
	v_sub_co_ci_u32_e64 v20, null, v20, v19, vcc_lo
	v_subrev_co_ci_u32_e64 v3, null, s29, v3, vcc_lo
	s_delay_alu instid0(VALU_DEP_3) | instskip(SKIP_1) | instid1(VALU_DEP_3)
	v_sub_co_u32 v15, s0, v11, s28
	v_add_nc_u64_e32 v[18:19], 1, v[12:13]
	v_subrev_co_ci_u32_e64 v3, null, 0, v3, s0
	s_delay_alu instid0(VALU_DEP_3) | instskip(SKIP_1) | instid1(VALU_DEP_3)
	v_cmp_le_u32_e32 vcc_lo, s28, v15
	v_cndmask_b32_e64 v15, 0, -1, vcc_lo
	v_cmp_le_u32_e32 vcc_lo, s29, v3
	v_cndmask_b32_e64 v16, 0, -1, vcc_lo
	;; [unrolled: 2-line block ×4, first 2 shown]
	v_cmp_eq_u32_e32 vcc_lo, s29, v3
	v_cndmask_b32_e32 v3, v16, v15, vcc_lo
	v_cmp_eq_u32_e32 vcc_lo, s29, v20
	v_add_nc_u64_e32 v[16:17], 2, v[12:13]
	v_cndmask_b32_e32 v11, v21, v11, vcc_lo
	s_delay_alu instid0(VALU_DEP_4) | instskip(NEXT) | instid1(VALU_DEP_3)
	v_cmp_ne_u32_e32 vcc_lo, 0, v3
	v_cndmask_b32_e32 v3, v19, v17, vcc_lo
	s_delay_alu instid0(VALU_DEP_3) | instskip(SKIP_1) | instid1(VALU_DEP_2)
	v_cmp_ne_u32_e64 s0, 0, v11
	v_dual_cndmask_b32 v11, v18, v16, vcc_lo :: v_dual_bitop2_b32 v10, s26, v10 bitop3:0x14
	v_cndmask_b32_e64 v3, v13, v3, s0
	s_delay_alu instid0(VALU_DEP_2) | instskip(NEXT) | instid1(VALU_DEP_2)
	v_dual_cndmask_b32 v12, v12, v11, s0 :: v_dual_mov_b32 v11, v10
	v_xor_b32_e32 v13, v3, v10
	s_delay_alu instid0(VALU_DEP_2) | instskip(NEXT) | instid1(VALU_DEP_1)
	v_xor_b32_e32 v12, v12, v10
	v_sub_nc_u64_e32 v[10:11], v[12:13], v[10:11]
                                        ; implicit-def: $vgpr12_vgpr13
.LBB24_9:                               ;   in Loop: Header=BB24_3 Depth=1
	s_and_not1_saveexec_b32 s0, s25
	s_cbranch_execz .LBB24_11
; %bb.10:                               ;   in Loop: Header=BB24_3 Depth=1
	v_cvt_f32_u32_e32 v3, s12
	s_sub_co_i32 s2, 0, s12
	s_delay_alu instid0(VALU_DEP_1) | instskip(SKIP_1) | instid1(TRANS32_DEP_1)
	v_rcp_iflag_f32_e32 v3, v3
	v_nop
	v_mul_f32_e32 v3, 0x4f7ffffe, v3
	s_delay_alu instid0(VALU_DEP_1) | instskip(NEXT) | instid1(VALU_DEP_1)
	v_cvt_u32_f32_e32 v3, v3
	v_mul_lo_u32 v10, s2, v3
	s_delay_alu instid0(VALU_DEP_1) | instskip(NEXT) | instid1(VALU_DEP_1)
	v_mul_hi_u32 v10, v3, v10
	v_add_nc_u32_e32 v3, v3, v10
	s_delay_alu instid0(VALU_DEP_1) | instskip(NEXT) | instid1(VALU_DEP_1)
	v_mul_hi_u32 v3, v12, v3
	v_mul_lo_u32 v10, v3, s12
	s_delay_alu instid0(VALU_DEP_1) | instskip(NEXT) | instid1(VALU_DEP_1)
	v_dual_add_nc_u32 v11, 1, v3 :: v_dual_sub_nc_u32 v10, v12, v10
	v_subrev_nc_u32_e32 v12, s12, v10
	v_cmp_le_u32_e32 vcc_lo, s12, v10
	s_delay_alu instid0(VALU_DEP_2) | instskip(NEXT) | instid1(VALU_DEP_1)
	v_dual_cndmask_b32 v10, v10, v12 :: v_dual_cndmask_b32 v3, v3, v11
	v_cmp_le_u32_e32 vcc_lo, s12, v10
	s_delay_alu instid0(VALU_DEP_2) | instskip(NEXT) | instid1(VALU_DEP_1)
	v_add_nc_u32_e32 v11, 1, v3
	v_dual_cndmask_b32 v10, v3, v11 :: v_dual_mov_b32 v11, v2
.LBB24_11:                              ;   in Loop: Header=BB24_3 Depth=1
	s_or_b32 exec_lo, exec_lo, s0
	s_delay_alu instid0(VALU_DEP_1) | instskip(SKIP_1) | instid1(VALU_DEP_1)
	v_or_b32_e32 v3, s11, v11
                                        ; implicit-def: $vgpr12_vgpr13
	s_mov_b32 s0, exec_lo
	v_cmpx_ne_u64_e32 0, v[2:3]
	s_xor_b32 s25, exec_lo, s0
	s_cbranch_execz .LBB24_13
; %bb.12:                               ;   in Loop: Header=BB24_3 Depth=1
	s_ashr_i32 s28, s11, 31
	v_dual_mov_b32 v19, v2 :: v_dual_ashrrev_i32 v12, 31, v11
	s_mov_b32 s29, s28
	v_mov_b32_e32 v23, v2
	s_add_nc_u64 s[30:31], s[10:11], s[28:29]
	s_delay_alu instid0(VALU_DEP_2)
	v_mov_b32_e32 v13, v12
	s_xor_b64 s[30:31], s[30:31], s[28:29]
	v_mov_b32_e32 v27, v2
	s_cvt_f32_u32 s0, s30
	s_cvt_f32_u32 s2, s31
	s_sub_nc_u64 s[36:37], 0, s[30:31]
	v_add_nc_u64_e32 v[16:17], v[10:11], v[12:13]
	s_delay_alu instid0(SALU_CYCLE_1) | instskip(NEXT) | instid1(SALU_CYCLE_3)
	s_fmamk_f32 s0, s2, 0x4f800000, s0
	v_s_rcp_f32 s0, s0
	s_delay_alu instid0(VALU_DEP_1) | instskip(NEXT) | instid1(VALU_DEP_2)
	v_xor_b32_e32 v18, v16, v12
	v_xor_b32_e32 v22, v17, v12
	s_delay_alu instid0(TRANS32_DEP_1) | instskip(NEXT) | instid1(SALU_CYCLE_3)
	s_mul_f32 s0, s0, 0x5f7ffffc
	s_mul_f32 s2, s0, 0x2f800000
	s_delay_alu instid0(SALU_CYCLE_3) | instskip(NEXT) | instid1(SALU_CYCLE_3)
	s_trunc_f32 s2, s2
	s_fmamk_f32 s0, s2, 0xcf800000, s0
	s_cvt_u32_f32 s35, s2
	s_delay_alu instid0(SALU_CYCLE_2) | instskip(NEXT) | instid1(SALU_CYCLE_3)
	s_cvt_u32_f32 s34, s0
	s_mul_u64 s[38:39], s[36:37], s[34:35]
	s_delay_alu instid0(SALU_CYCLE_1)
	s_mul_hi_u32 s41, s34, s39
	s_mul_i32 s40, s34, s39
	s_mul_hi_u32 s2, s34, s38
	s_mul_i32 s27, s35, s38
	s_add_nc_u64 s[40:41], s[2:3], s[40:41]
	s_mul_hi_u32 s0, s35, s38
	s_mul_hi_u32 s29, s35, s39
	s_add_co_u32 s2, s40, s27
	s_add_co_ci_u32 s2, s41, s0
	s_mul_i32 s38, s35, s39
	s_add_co_ci_u32 s39, s29, 0
	s_delay_alu instid0(SALU_CYCLE_1) | instskip(NEXT) | instid1(SALU_CYCLE_1)
	s_add_nc_u64 s[38:39], s[2:3], s[38:39]
	s_add_co_u32 s34, s34, s38
	s_cselect_b32 s0, -1, 0
	s_delay_alu instid0(SALU_CYCLE_1) | instskip(SKIP_1) | instid1(SALU_CYCLE_1)
	s_cmp_lg_u32 s0, 0
	s_add_co_ci_u32 s35, s35, s39
	s_mul_u64 s[36:37], s[36:37], s[34:35]
	s_delay_alu instid0(SALU_CYCLE_1)
	s_mul_hi_u32 s39, s34, s37
	s_mul_i32 s38, s34, s37
	s_mul_hi_u32 s2, s34, s36
	s_mul_i32 s27, s35, s36
	s_add_nc_u64 s[38:39], s[2:3], s[38:39]
	s_mul_hi_u32 s0, s35, s36
	s_mul_hi_u32 s29, s35, s37
	s_add_co_u32 s2, s38, s27
	s_add_co_ci_u32 s2, s39, s0
	s_mul_i32 s36, s35, s37
	s_add_co_ci_u32 s37, s29, 0
	s_delay_alu instid0(SALU_CYCLE_1) | instskip(NEXT) | instid1(SALU_CYCLE_1)
	s_add_nc_u64 s[36:37], s[2:3], s[36:37]
	s_add_co_u32 s0, s34, s36
	s_cselect_b32 s2, -1, 0
	v_mul_hi_u32 v26, v18, s0
	s_cmp_lg_u32 s2, 0
	s_add_co_ci_u32 s2, s35, s37
	s_and_b64 s[34:35], s[0:1], s[6:7]
	v_mul_u64_e32 v[20:21], s[2:3], v[18:19]
	v_mul_u64_e32 v[16:17], s[34:35], v[22:23]
	;; [unrolled: 1-line block ×3, first 2 shown]
	s_delay_alu instid0(VALU_DEP_3) | instskip(NEXT) | instid1(VALU_DEP_1)
	v_add_nc_u64_e32 v[20:21], v[26:27], v[20:21]
	v_add_co_u32 v3, vcc_lo, v20, v16
	s_delay_alu instid0(VALU_DEP_2) | instskip(NEXT) | instid1(VALU_DEP_4)
	v_add_co_ci_u32_e32 v26, vcc_lo, v21, v17, vcc_lo
	v_add_co_ci_u32_e32 v25, vcc_lo, 0, v25, vcc_lo
	s_delay_alu instid0(VALU_DEP_1) | instskip(NEXT) | instid1(VALU_DEP_1)
	v_add_nc_u64_e32 v[16:17], v[26:27], v[24:25]
	v_mul_u64_e32 v[20:21], s[30:31], v[16:17]
	s_delay_alu instid0(VALU_DEP_1) | instskip(NEXT) | instid1(VALU_DEP_2)
	v_sub_nc_u32_e32 v3, v22, v21
	v_sub_co_u32 v11, vcc_lo, v18, v20
	s_delay_alu instid0(VALU_DEP_1) | instskip(NEXT) | instid1(VALU_DEP_3)
	v_sub_co_ci_u32_e64 v15, null, v22, v21, vcc_lo
	v_subrev_co_ci_u32_e64 v3, null, s31, v3, vcc_lo
	s_delay_alu instid0(VALU_DEP_3) | instskip(SKIP_1) | instid1(VALU_DEP_3)
	v_sub_co_u32 v13, s0, v11, s30
	v_add_nc_u64_e32 v[20:21], 1, v[16:17]
	v_subrev_co_ci_u32_e64 v3, null, 0, v3, s0
	s_delay_alu instid0(VALU_DEP_3) | instskip(SKIP_1) | instid1(VALU_DEP_3)
	v_cmp_le_u32_e32 vcc_lo, s30, v13
	v_cndmask_b32_e64 v13, 0, -1, vcc_lo
	v_cmp_le_u32_e32 vcc_lo, s31, v3
	v_cndmask_b32_e64 v18, 0, -1, vcc_lo
	;; [unrolled: 2-line block ×4, first 2 shown]
	v_cmp_eq_u32_e32 vcc_lo, s31, v3
	v_cndmask_b32_e32 v3, v18, v13, vcc_lo
	v_cmp_eq_u32_e32 vcc_lo, s31, v15
	v_add_nc_u64_e32 v[18:19], 2, v[16:17]
	v_cndmask_b32_e32 v11, v22, v11, vcc_lo
	s_delay_alu instid0(VALU_DEP_4) | instskip(NEXT) | instid1(VALU_DEP_2)
	v_cmp_ne_u32_e32 vcc_lo, 0, v3
	v_cmp_ne_u32_e64 s0, 0, v11
	s_delay_alu instid0(VALU_DEP_4) | instskip(NEXT) | instid1(VALU_DEP_1)
	v_dual_cndmask_b32 v3, v21, v19, vcc_lo :: v_dual_cndmask_b32 v11, v20, v18, vcc_lo
	v_dual_cndmask_b32 v3, v17, v3, s0 :: v_dual_bitop2_b32 v12, s28, v12 bitop3:0x14
	s_delay_alu instid0(VALU_DEP_1) | instskip(NEXT) | instid1(VALU_DEP_1)
	v_dual_cndmask_b32 v11, v16, v11, s0 :: v_dual_bitop2_b32 v17, v3, v12 bitop3:0x14
	v_dual_mov_b32 v13, v12 :: v_dual_bitop2_b32 v16, v11, v12 bitop3:0x14
	s_delay_alu instid0(VALU_DEP_1)
	v_sub_nc_u64_e32 v[12:13], v[16:17], v[12:13]
.LBB24_13:                              ;   in Loop: Header=BB24_3 Depth=1
	s_and_not1_saveexec_b32 s0, s25
	s_cbranch_execz .LBB24_2
; %bb.14:                               ;   in Loop: Header=BB24_3 Depth=1
	v_cvt_f32_u32_e32 v3, s10
	s_sub_co_i32 s2, 0, s10
	s_delay_alu instid0(VALU_DEP_1) | instskip(SKIP_1) | instid1(TRANS32_DEP_1)
	v_rcp_iflag_f32_e32 v3, v3
	v_nop
	v_mul_f32_e32 v3, 0x4f7ffffe, v3
	s_delay_alu instid0(VALU_DEP_1) | instskip(NEXT) | instid1(VALU_DEP_1)
	v_cvt_u32_f32_e32 v3, v3
	v_mul_lo_u32 v11, s2, v3
	s_delay_alu instid0(VALU_DEP_1) | instskip(NEXT) | instid1(VALU_DEP_1)
	v_mul_hi_u32 v11, v3, v11
	v_add_nc_u32_e32 v3, v3, v11
	s_delay_alu instid0(VALU_DEP_1) | instskip(NEXT) | instid1(VALU_DEP_1)
	v_mul_hi_u32 v3, v10, v3
	v_mul_lo_u32 v11, v3, s10
	s_delay_alu instid0(VALU_DEP_1) | instskip(NEXT) | instid1(VALU_DEP_1)
	v_sub_nc_u32_e32 v11, v10, v11
	v_subrev_nc_u32_e32 v13, s10, v11
	v_cmp_le_u32_e32 vcc_lo, s10, v11
	s_delay_alu instid0(VALU_DEP_2) | instskip(NEXT) | instid1(VALU_DEP_1)
	v_dual_cndmask_b32 v11, v11, v13 :: v_dual_add_nc_u32 v12, 1, v3
	v_cndmask_b32_e32 v3, v3, v12, vcc_lo
	s_delay_alu instid0(VALU_DEP_2) | instskip(NEXT) | instid1(VALU_DEP_2)
	v_cmp_le_u32_e32 vcc_lo, s10, v11
	v_add_nc_u32_e32 v12, 1, v3
	s_delay_alu instid0(VALU_DEP_1)
	v_cndmask_b32_e32 v12, v3, v12, vcc_lo
	s_branch .LBB24_2
.LBB24_15:
	s_endpgm
	.section	.rodata,"a",@progbits
	.p2align	6, 0x0
	.amdhsa_kernel _ZN2at6native31max_unpooling2d_backward_kernelIfEEvlPKT_PKllllllPS2_
		.amdhsa_group_segment_fixed_size 0
		.amdhsa_private_segment_fixed_size 0
		.amdhsa_kernarg_size 328
		.amdhsa_user_sgpr_count 2
		.amdhsa_user_sgpr_dispatch_ptr 0
		.amdhsa_user_sgpr_queue_ptr 0
		.amdhsa_user_sgpr_kernarg_segment_ptr 1
		.amdhsa_user_sgpr_dispatch_id 0
		.amdhsa_user_sgpr_kernarg_preload_length 0
		.amdhsa_user_sgpr_kernarg_preload_offset 0
		.amdhsa_user_sgpr_private_segment_size 0
		.amdhsa_wavefront_size32 1
		.amdhsa_uses_dynamic_stack 0
		.amdhsa_enable_private_segment 0
		.amdhsa_system_sgpr_workgroup_id_x 1
		.amdhsa_system_sgpr_workgroup_id_y 0
		.amdhsa_system_sgpr_workgroup_id_z 0
		.amdhsa_system_sgpr_workgroup_info 0
		.amdhsa_system_vgpr_workitem_id 0
		.amdhsa_next_free_vgpr 28
		.amdhsa_next_free_sgpr 42
		.amdhsa_named_barrier_count 0
		.amdhsa_reserve_vcc 1
		.amdhsa_float_round_mode_32 0
		.amdhsa_float_round_mode_16_64 0
		.amdhsa_float_denorm_mode_32 3
		.amdhsa_float_denorm_mode_16_64 3
		.amdhsa_fp16_overflow 0
		.amdhsa_memory_ordered 1
		.amdhsa_forward_progress 1
		.amdhsa_inst_pref_size 21
		.amdhsa_round_robin_scheduling 0
		.amdhsa_exception_fp_ieee_invalid_op 0
		.amdhsa_exception_fp_denorm_src 0
		.amdhsa_exception_fp_ieee_div_zero 0
		.amdhsa_exception_fp_ieee_overflow 0
		.amdhsa_exception_fp_ieee_underflow 0
		.amdhsa_exception_fp_ieee_inexact 0
		.amdhsa_exception_int_div_zero 0
	.end_amdhsa_kernel
	.section	.text._ZN2at6native31max_unpooling2d_backward_kernelIfEEvlPKT_PKllllllPS2_,"axG",@progbits,_ZN2at6native31max_unpooling2d_backward_kernelIfEEvlPKT_PKllllllPS2_,comdat
.Lfunc_end24:
	.size	_ZN2at6native31max_unpooling2d_backward_kernelIfEEvlPKT_PKllllllPS2_, .Lfunc_end24-_ZN2at6native31max_unpooling2d_backward_kernelIfEEvlPKT_PKllllllPS2_
                                        ; -- End function
	.set _ZN2at6native31max_unpooling2d_backward_kernelIfEEvlPKT_PKllllllPS2_.num_vgpr, 28
	.set _ZN2at6native31max_unpooling2d_backward_kernelIfEEvlPKT_PKllllllPS2_.num_agpr, 0
	.set _ZN2at6native31max_unpooling2d_backward_kernelIfEEvlPKT_PKllllllPS2_.numbered_sgpr, 42
	.set _ZN2at6native31max_unpooling2d_backward_kernelIfEEvlPKT_PKllllllPS2_.num_named_barrier, 0
	.set _ZN2at6native31max_unpooling2d_backward_kernelIfEEvlPKT_PKllllllPS2_.private_seg_size, 0
	.set _ZN2at6native31max_unpooling2d_backward_kernelIfEEvlPKT_PKllllllPS2_.uses_vcc, 1
	.set _ZN2at6native31max_unpooling2d_backward_kernelIfEEvlPKT_PKllllllPS2_.uses_flat_scratch, 0
	.set _ZN2at6native31max_unpooling2d_backward_kernelIfEEvlPKT_PKllllllPS2_.has_dyn_sized_stack, 0
	.set _ZN2at6native31max_unpooling2d_backward_kernelIfEEvlPKT_PKllllllPS2_.has_recursion, 0
	.set _ZN2at6native31max_unpooling2d_backward_kernelIfEEvlPKT_PKllllllPS2_.has_indirect_call, 0
	.section	.AMDGPU.csdata,"",@progbits
; Kernel info:
; codeLenInByte = 2600
; TotalNumSgprs: 44
; NumVgprs: 28
; ScratchSize: 0
; MemoryBound: 0
; FloatMode: 240
; IeeeMode: 1
; LDSByteSize: 0 bytes/workgroup (compile time only)
; SGPRBlocks: 0
; VGPRBlocks: 1
; NumSGPRsForWavesPerEU: 44
; NumVGPRsForWavesPerEU: 28
; NamedBarCnt: 0
; Occupancy: 16
; WaveLimiterHint : 1
; COMPUTE_PGM_RSRC2:SCRATCH_EN: 0
; COMPUTE_PGM_RSRC2:USER_SGPR: 2
; COMPUTE_PGM_RSRC2:TRAP_HANDLER: 0
; COMPUTE_PGM_RSRC2:TGID_X_EN: 1
; COMPUTE_PGM_RSRC2:TGID_Y_EN: 0
; COMPUTE_PGM_RSRC2:TGID_Z_EN: 0
; COMPUTE_PGM_RSRC2:TIDIG_COMP_CNT: 0
	.section	.text._ZN2at6native31max_unpooling2d_backward_kernelIN3c104HalfEEEvlPKT_PKllllllPS4_,"axG",@progbits,_ZN2at6native31max_unpooling2d_backward_kernelIN3c104HalfEEEvlPKT_PKllllllPS4_,comdat
	.protected	_ZN2at6native31max_unpooling2d_backward_kernelIN3c104HalfEEEvlPKT_PKllllllPS4_ ; -- Begin function _ZN2at6native31max_unpooling2d_backward_kernelIN3c104HalfEEEvlPKT_PKllllllPS4_
	.globl	_ZN2at6native31max_unpooling2d_backward_kernelIN3c104HalfEEEvlPKT_PKllllllPS4_
	.p2align	8
	.type	_ZN2at6native31max_unpooling2d_backward_kernelIN3c104HalfEEEvlPKT_PKllllllPS4_,@function
_ZN2at6native31max_unpooling2d_backward_kernelIN3c104HalfEEEvlPKT_PKllllllPS4_: ; @_ZN2at6native31max_unpooling2d_backward_kernelIN3c104HalfEEEvlPKT_PKllllllPS4_
; %bb.0:
	s_load_b32 s2, s[0:1], 0x54
	s_bfe_u32 s4, ttmp6, 0x4000c
	v_mov_b32_e32 v2, 0
	s_add_co_i32 s21, s4, 1
	s_load_b512 s[4:19], s[0:1], 0x0
	s_and_b32 s3, ttmp6, 15
	s_mul_i32 s21, ttmp9, s21
	s_getreg_b32 s20, hwreg(HW_REG_IB_STS2, 6, 4)
	v_mov_b32_e32 v1, v2
	s_add_co_i32 s3, s3, s21
	s_wait_kmcnt 0x0
	s_and_b32 s2, s2, 0xffff
	s_cmp_eq_u32 s20, 0
	s_mov_b32 s20, exec_lo
	s_cselect_b32 s3, ttmp9, s3
	s_delay_alu instid0(SALU_CYCLE_1) | instskip(SKIP_1) | instid1(VALU_DEP_1)
	v_mad_nc_u64_u32 v[0:1], s2, s3, v[0:1]
	s_mov_b32 s3, 0
	v_cmpx_gt_i64_e64 s[4:5], v[0:1]
	s_cbranch_execz .LBB25_15
; %bb.1:
	v_cvt_f32_u32_e32 v3, s14
	s_sub_co_i32 s22, 0, s14
	s_add_nc_u64 s[20:21], s[0:1], 0x48
	v_mov_b64_e32 v[4:5], s[6:7]
	s_load_b32 s23, s[20:21], 0x0
	v_rcp_iflag_f32_e32 v3, v3
	s_wait_xcnt 0x0
	s_load_b64 s[20:21], s[0:1], 0x40
	s_mul_u64 s[16:17], s[18:19], s[16:17]
	s_mov_b32 s19, s3
	s_mov_b64 s[6:7], 0xffffffff
	s_ashr_i32 s24, s15, 31
	s_ashr_i32 s26, s13, 31
	v_nop
	v_mul_f32_e32 v3, 0x4f7ffffe, v3
	s_wait_xcnt 0x0
	s_mov_b32 s1, 0
	s_delay_alu instid0(VALU_DEP_1) | instskip(NEXT) | instid1(VALU_DEP_1)
	v_cvt_u32_f32_e32 v6, v3
	v_mul_lo_u32 v3, s22, v6
	s_mov_b32 s22, s3
	s_wait_kmcnt 0x0
	s_mul_i32 s18, s23, s2
	s_delay_alu instid0(SALU_CYCLE_1) | instskip(NEXT) | instid1(VALU_DEP_1)
	s_mov_b32 s23, s18
	v_mul_hi_u32 v7, v6, v3
	s_delay_alu instid0(VALU_DEP_1) | instskip(NEXT) | instid1(VALU_DEP_1)
	v_dual_mov_b32 v3, v0 :: v_dual_add_nc_u32 v14, v6, v7
	v_mov_b64_e32 v[6:7], v[2:3]
	s_branch .LBB25_3
.LBB25_2:                               ;   in Loop: Header=BB25_3 Depth=1
	s_or_b32 exec_lo, exec_lo, s0
	v_lshl_add_u64 v[16:17], v[8:9], 3, s[8:9]
	s_delay_alu instid0(VALU_DEP_2)
	v_mul_lo_u32 v11, v12, s10
	v_add_nc_u64_e32 v[0:1], s[18:19], v[0:1]
	v_add_nc_u64_e32 v[6:7], s[22:23], v[6:7]
	v_lshl_add_u64 v[8:9], v[8:9], 1, s[20:21]
	global_load_b32 v3, v[16:17], off
	v_ashrrev_i32_e32 v13, 31, v12
	v_cmp_le_i64_e32 vcc_lo, s[4:5], v[0:1]
	v_sub_nc_u32_e32 v10, v10, v11
	s_or_b32 s1, vcc_lo, s1
	s_delay_alu instid0(VALU_DEP_1) | instskip(NEXT) | instid1(VALU_DEP_1)
	v_ashrrev_i32_e32 v11, 31, v10
	v_mad_nc_u64_u32 v[10:11], v12, s10, v[10:11]
	s_delay_alu instid0(VALU_DEP_1) | instskip(NEXT) | instid1(VALU_DEP_1)
	v_mad_u32 v11, v13, s10, v11
	v_mad_u32 v11, v12, s11, v11
	s_delay_alu instid0(VALU_DEP_1) | instskip(NEXT) | instid1(VALU_DEP_1)
	v_mul_u64_e32 v[10:11], s[16:17], v[10:11]
	v_lshl_add_u64 v[4:5], v[10:11], 1, v[4:5]
	s_wait_loadcnt 0x0
	v_ashrrev_i64 v[12:13], 31, v[2:3]
	s_delay_alu instid0(VALU_DEP_1)
	v_add_nc_u64_e32 v[10:11], v[4:5], v[12:13]
	global_load_u16 v3, v[10:11], off
	s_wait_loadcnt 0x0
	global_store_b16 v[8:9], v3, off
	s_wait_xcnt 0x0
	s_and_not1_b32 exec_lo, exec_lo, s1
	s_cbranch_execz .LBB25_15
.LBB25_3:                               ; =>This Inner Loop Header: Depth=1
	s_delay_alu instid0(VALU_DEP_1) | instskip(SKIP_1) | instid1(VALU_DEP_1)
	v_dual_mov_b32 v8, v7 :: v_dual_ashrrev_i32 v9, 31, v7
                                        ; implicit-def: $vgpr12_vgpr13
	s_mov_b32 s0, exec_lo
	v_or_b32_e32 v3, s15, v9
	s_delay_alu instid0(VALU_DEP_1)
	v_cmpx_ne_u64_e32 0, v[2:3]
	s_xor_b32 s27, exec_lo, s0
	s_cbranch_execz .LBB25_5
; %bb.4:                                ;   in Loop: Header=BB25_3 Depth=1
	s_mov_b32 s25, s24
	v_dual_mov_b32 v17, v2 :: v_dual_ashrrev_i32 v10, 31, v9
	s_add_nc_u64 s[28:29], s[14:15], s[24:25]
	s_delay_alu instid0(SALU_CYCLE_1) | instskip(NEXT) | instid1(VALU_DEP_1)
	s_xor_b64 s[28:29], s[28:29], s[24:25]
	v_mov_b32_e32 v11, v10
	s_cvt_f32_u32 s0, s28
	s_cvt_f32_u32 s2, s29
	s_sub_nc_u64 s[34:35], 0, s[28:29]
	s_delay_alu instid0(VALU_DEP_1) | instskip(NEXT) | instid1(SALU_CYCLE_1)
	v_add_nc_u64_e32 v[12:13], v[8:9], v[10:11]
	s_fmamk_f32 s0, s2, 0x4f800000, s0
	v_mov_b32_e32 v21, v2
	s_delay_alu instid0(SALU_CYCLE_2) | instskip(NEXT) | instid1(VALU_DEP_2)
	v_s_rcp_f32 s0, s0
	v_xor_b32_e32 v16, v12, v10
	s_delay_alu instid0(VALU_DEP_3) | instskip(NEXT) | instid1(TRANS32_DEP_1)
	v_dual_mov_b32 v25, v2 :: v_dual_bitop2_b32 v20, v13, v10 bitop3:0x14
	s_mul_f32 s0, s0, 0x5f7ffffc
	s_delay_alu instid0(SALU_CYCLE_3) | instskip(NEXT) | instid1(SALU_CYCLE_3)
	s_mul_f32 s2, s0, 0x2f800000
	s_trunc_f32 s2, s2
	s_delay_alu instid0(SALU_CYCLE_3) | instskip(SKIP_1) | instid1(SALU_CYCLE_2)
	s_fmamk_f32 s0, s2, 0xcf800000, s0
	s_cvt_u32_f32 s31, s2
	s_cvt_u32_f32 s30, s0
	s_delay_alu instid0(SALU_CYCLE_3) | instskip(NEXT) | instid1(SALU_CYCLE_1)
	s_mul_u64 s[36:37], s[34:35], s[30:31]
	s_mul_hi_u32 s39, s30, s37
	s_mul_i32 s38, s30, s37
	s_mul_hi_u32 s2, s30, s36
	s_mul_i32 s25, s31, s36
	s_add_nc_u64 s[38:39], s[2:3], s[38:39]
	s_mul_hi_u32 s0, s31, s36
	s_mul_hi_u32 s33, s31, s37
	s_add_co_u32 s2, s38, s25
	s_add_co_ci_u32 s2, s39, s0
	s_mul_i32 s36, s31, s37
	s_add_co_ci_u32 s37, s33, 0
	s_delay_alu instid0(SALU_CYCLE_1) | instskip(NEXT) | instid1(SALU_CYCLE_1)
	s_add_nc_u64 s[36:37], s[2:3], s[36:37]
	s_add_co_u32 s30, s30, s36
	s_cselect_b32 s0, -1, 0
	s_delay_alu instid0(SALU_CYCLE_1) | instskip(SKIP_1) | instid1(SALU_CYCLE_1)
	s_cmp_lg_u32 s0, 0
	s_add_co_ci_u32 s31, s31, s37
	s_mul_u64 s[34:35], s[34:35], s[30:31]
	s_delay_alu instid0(SALU_CYCLE_1)
	s_mul_hi_u32 s37, s30, s35
	s_mul_i32 s36, s30, s35
	s_mul_hi_u32 s2, s30, s34
	s_mul_i32 s25, s31, s34
	s_add_nc_u64 s[36:37], s[2:3], s[36:37]
	s_mul_hi_u32 s0, s31, s34
	s_mul_hi_u32 s33, s31, s35
	s_add_co_u32 s2, s36, s25
	s_add_co_ci_u32 s2, s37, s0
	s_mul_i32 s34, s31, s35
	s_add_co_ci_u32 s35, s33, 0
	s_delay_alu instid0(SALU_CYCLE_1) | instskip(NEXT) | instid1(SALU_CYCLE_1)
	s_add_nc_u64 s[34:35], s[2:3], s[34:35]
	s_add_co_u32 s0, s30, s34
	s_cselect_b32 s2, -1, 0
	v_mul_hi_u32 v24, v16, s0
	s_cmp_lg_u32 s2, 0
	s_add_co_ci_u32 s2, s31, s35
	s_and_b64 s[30:31], s[0:1], s[6:7]
	v_mul_u64_e32 v[18:19], s[2:3], v[16:17]
	v_mul_u64_e32 v[12:13], s[30:31], v[20:21]
	v_mul_u64_e32 v[22:23], s[2:3], v[20:21]
	s_delay_alu instid0(VALU_DEP_3) | instskip(NEXT) | instid1(VALU_DEP_1)
	v_add_nc_u64_e32 v[18:19], v[24:25], v[18:19]
	v_add_co_u32 v3, vcc_lo, v18, v12
	s_delay_alu instid0(VALU_DEP_2) | instskip(NEXT) | instid1(VALU_DEP_4)
	v_add_co_ci_u32_e32 v24, vcc_lo, v19, v13, vcc_lo
	v_add_co_ci_u32_e32 v23, vcc_lo, 0, v23, vcc_lo
	s_delay_alu instid0(VALU_DEP_1) | instskip(NEXT) | instid1(VALU_DEP_1)
	v_add_nc_u64_e32 v[12:13], v[24:25], v[22:23]
	v_mul_u64_e32 v[18:19], s[28:29], v[12:13]
	s_delay_alu instid0(VALU_DEP_1) | instskip(NEXT) | instid1(VALU_DEP_2)
	v_sub_nc_u32_e32 v3, v20, v19
	v_sub_co_u32 v11, vcc_lo, v16, v18
	s_delay_alu instid0(VALU_DEP_1) | instskip(NEXT) | instid1(VALU_DEP_3)
	v_sub_co_ci_u32_e64 v20, null, v20, v19, vcc_lo
	v_subrev_co_ci_u32_e64 v3, null, s29, v3, vcc_lo
	s_delay_alu instid0(VALU_DEP_3) | instskip(SKIP_1) | instid1(VALU_DEP_3)
	v_sub_co_u32 v15, s0, v11, s28
	v_add_nc_u64_e32 v[18:19], 1, v[12:13]
	v_subrev_co_ci_u32_e64 v3, null, 0, v3, s0
	s_delay_alu instid0(VALU_DEP_3) | instskip(SKIP_1) | instid1(VALU_DEP_3)
	v_cmp_le_u32_e32 vcc_lo, s28, v15
	v_cndmask_b32_e64 v15, 0, -1, vcc_lo
	v_cmp_le_u32_e32 vcc_lo, s29, v3
	v_cndmask_b32_e64 v16, 0, -1, vcc_lo
	;; [unrolled: 2-line block ×4, first 2 shown]
	v_cmp_eq_u32_e32 vcc_lo, s29, v3
	v_cndmask_b32_e32 v3, v16, v15, vcc_lo
	v_cmp_eq_u32_e32 vcc_lo, s29, v20
	v_add_nc_u64_e32 v[16:17], 2, v[12:13]
	v_cndmask_b32_e32 v11, v21, v11, vcc_lo
	s_delay_alu instid0(VALU_DEP_4) | instskip(NEXT) | instid1(VALU_DEP_3)
	v_cmp_ne_u32_e32 vcc_lo, 0, v3
	v_cndmask_b32_e32 v3, v19, v17, vcc_lo
	s_delay_alu instid0(VALU_DEP_3) | instskip(SKIP_1) | instid1(VALU_DEP_2)
	v_cmp_ne_u32_e64 s0, 0, v11
	v_dual_cndmask_b32 v11, v18, v16, vcc_lo :: v_dual_bitop2_b32 v10, s24, v10 bitop3:0x14
	v_cndmask_b32_e64 v3, v13, v3, s0
	s_delay_alu instid0(VALU_DEP_2) | instskip(NEXT) | instid1(VALU_DEP_2)
	v_dual_cndmask_b32 v12, v12, v11, s0 :: v_dual_mov_b32 v11, v10
	v_xor_b32_e32 v13, v3, v10
	s_delay_alu instid0(VALU_DEP_2) | instskip(NEXT) | instid1(VALU_DEP_1)
	v_xor_b32_e32 v12, v12, v10
	v_sub_nc_u64_e32 v[12:13], v[12:13], v[10:11]
.LBB25_5:                               ;   in Loop: Header=BB25_3 Depth=1
	s_and_not1_saveexec_b32 s0, s27
	s_cbranch_execz .LBB25_7
; %bb.6:                                ;   in Loop: Header=BB25_3 Depth=1
	v_mul_hi_u32 v3, v7, v14
	v_mov_b32_e32 v13, v2
	s_delay_alu instid0(VALU_DEP_2) | instskip(NEXT) | instid1(VALU_DEP_1)
	v_mul_lo_u32 v10, v3, s14
	v_dual_add_nc_u32 v11, 1, v3 :: v_dual_sub_nc_u32 v10, v7, v10
	s_delay_alu instid0(VALU_DEP_1) | instskip(SKIP_1) | instid1(VALU_DEP_2)
	v_subrev_nc_u32_e32 v12, s14, v10
	v_cmp_le_u32_e32 vcc_lo, s14, v10
	v_dual_cndmask_b32 v10, v10, v12 :: v_dual_cndmask_b32 v3, v3, v11
	s_delay_alu instid0(VALU_DEP_1) | instskip(NEXT) | instid1(VALU_DEP_2)
	v_cmp_le_u32_e32 vcc_lo, s14, v10
	v_add_nc_u32_e32 v11, 1, v3
	s_delay_alu instid0(VALU_DEP_1)
	v_cndmask_b32_e32 v12, v3, v11, vcc_lo
.LBB25_7:                               ;   in Loop: Header=BB25_3 Depth=1
	s_or_b32 exec_lo, exec_lo, s0
	s_delay_alu instid0(VALU_DEP_1) | instskip(SKIP_1) | instid1(VALU_DEP_1)
	v_or_b32_e32 v3, s13, v13
                                        ; implicit-def: $vgpr10_vgpr11
	s_mov_b32 s0, exec_lo
	v_cmpx_ne_u64_e32 0, v[2:3]
	s_xor_b32 s25, exec_lo, s0
	s_cbranch_execz .LBB25_9
; %bb.8:                                ;   in Loop: Header=BB25_3 Depth=1
	s_mov_b32 s27, s26
	v_dual_mov_b32 v17, v2 :: v_dual_ashrrev_i32 v10, 31, v13
	s_add_nc_u64 s[28:29], s[12:13], s[26:27]
	s_delay_alu instid0(SALU_CYCLE_1) | instskip(NEXT) | instid1(VALU_DEP_1)
	s_xor_b64 s[28:29], s[28:29], s[26:27]
	v_mov_b32_e32 v11, v10
	s_cvt_f32_u32 s0, s28
	s_cvt_f32_u32 s2, s29
	s_sub_nc_u64 s[34:35], 0, s[28:29]
	s_delay_alu instid0(VALU_DEP_1) | instskip(NEXT) | instid1(SALU_CYCLE_1)
	v_add_nc_u64_e32 v[12:13], v[12:13], v[10:11]
	s_fmamk_f32 s0, s2, 0x4f800000, s0
	v_mov_b32_e32 v21, v2
	s_delay_alu instid0(SALU_CYCLE_2) | instskip(NEXT) | instid1(VALU_DEP_2)
	v_s_rcp_f32 s0, s0
	v_xor_b32_e32 v16, v12, v10
	s_delay_alu instid0(VALU_DEP_3) | instskip(NEXT) | instid1(TRANS32_DEP_1)
	v_dual_mov_b32 v25, v2 :: v_dual_bitop2_b32 v20, v13, v10 bitop3:0x14
	s_mul_f32 s0, s0, 0x5f7ffffc
	s_delay_alu instid0(SALU_CYCLE_3) | instskip(NEXT) | instid1(SALU_CYCLE_3)
	s_mul_f32 s2, s0, 0x2f800000
	s_trunc_f32 s2, s2
	s_delay_alu instid0(SALU_CYCLE_3) | instskip(SKIP_1) | instid1(SALU_CYCLE_2)
	s_fmamk_f32 s0, s2, 0xcf800000, s0
	s_cvt_u32_f32 s31, s2
	s_cvt_u32_f32 s30, s0
	s_delay_alu instid0(SALU_CYCLE_3) | instskip(NEXT) | instid1(SALU_CYCLE_1)
	s_mul_u64 s[36:37], s[34:35], s[30:31]
	s_mul_hi_u32 s39, s30, s37
	s_mul_i32 s38, s30, s37
	s_mul_hi_u32 s2, s30, s36
	s_mul_i32 s27, s31, s36
	s_add_nc_u64 s[38:39], s[2:3], s[38:39]
	s_mul_hi_u32 s0, s31, s36
	s_mul_hi_u32 s33, s31, s37
	s_add_co_u32 s2, s38, s27
	s_add_co_ci_u32 s2, s39, s0
	s_mul_i32 s36, s31, s37
	s_add_co_ci_u32 s37, s33, 0
	s_delay_alu instid0(SALU_CYCLE_1) | instskip(NEXT) | instid1(SALU_CYCLE_1)
	s_add_nc_u64 s[36:37], s[2:3], s[36:37]
	s_add_co_u32 s30, s30, s36
	s_cselect_b32 s0, -1, 0
	s_delay_alu instid0(SALU_CYCLE_1) | instskip(SKIP_1) | instid1(SALU_CYCLE_1)
	s_cmp_lg_u32 s0, 0
	s_add_co_ci_u32 s31, s31, s37
	s_mul_u64 s[34:35], s[34:35], s[30:31]
	s_delay_alu instid0(SALU_CYCLE_1)
	s_mul_hi_u32 s37, s30, s35
	s_mul_i32 s36, s30, s35
	s_mul_hi_u32 s2, s30, s34
	s_mul_i32 s27, s31, s34
	s_add_nc_u64 s[36:37], s[2:3], s[36:37]
	s_mul_hi_u32 s0, s31, s34
	s_mul_hi_u32 s33, s31, s35
	s_add_co_u32 s2, s36, s27
	s_add_co_ci_u32 s2, s37, s0
	s_mul_i32 s34, s31, s35
	s_add_co_ci_u32 s35, s33, 0
	s_delay_alu instid0(SALU_CYCLE_1) | instskip(NEXT) | instid1(SALU_CYCLE_1)
	s_add_nc_u64 s[34:35], s[2:3], s[34:35]
	s_add_co_u32 s0, s30, s34
	s_cselect_b32 s2, -1, 0
	v_mul_hi_u32 v24, v16, s0
	s_cmp_lg_u32 s2, 0
	s_add_co_ci_u32 s2, s31, s35
	s_and_b64 s[30:31], s[0:1], s[6:7]
	v_mul_u64_e32 v[18:19], s[2:3], v[16:17]
	v_mul_u64_e32 v[12:13], s[30:31], v[20:21]
	;; [unrolled: 1-line block ×3, first 2 shown]
	s_delay_alu instid0(VALU_DEP_3) | instskip(NEXT) | instid1(VALU_DEP_1)
	v_add_nc_u64_e32 v[18:19], v[24:25], v[18:19]
	v_add_co_u32 v3, vcc_lo, v18, v12
	s_delay_alu instid0(VALU_DEP_2) | instskip(NEXT) | instid1(VALU_DEP_4)
	v_add_co_ci_u32_e32 v24, vcc_lo, v19, v13, vcc_lo
	v_add_co_ci_u32_e32 v23, vcc_lo, 0, v23, vcc_lo
	s_delay_alu instid0(VALU_DEP_1) | instskip(NEXT) | instid1(VALU_DEP_1)
	v_add_nc_u64_e32 v[12:13], v[24:25], v[22:23]
	v_mul_u64_e32 v[18:19], s[28:29], v[12:13]
	s_delay_alu instid0(VALU_DEP_1) | instskip(NEXT) | instid1(VALU_DEP_2)
	v_sub_nc_u32_e32 v3, v20, v19
	v_sub_co_u32 v11, vcc_lo, v16, v18
	s_delay_alu instid0(VALU_DEP_1) | instskip(NEXT) | instid1(VALU_DEP_3)
	v_sub_co_ci_u32_e64 v20, null, v20, v19, vcc_lo
	v_subrev_co_ci_u32_e64 v3, null, s29, v3, vcc_lo
	s_delay_alu instid0(VALU_DEP_3) | instskip(SKIP_1) | instid1(VALU_DEP_3)
	v_sub_co_u32 v15, s0, v11, s28
	v_add_nc_u64_e32 v[18:19], 1, v[12:13]
	v_subrev_co_ci_u32_e64 v3, null, 0, v3, s0
	s_delay_alu instid0(VALU_DEP_3) | instskip(SKIP_1) | instid1(VALU_DEP_3)
	v_cmp_le_u32_e32 vcc_lo, s28, v15
	v_cndmask_b32_e64 v15, 0, -1, vcc_lo
	v_cmp_le_u32_e32 vcc_lo, s29, v3
	v_cndmask_b32_e64 v16, 0, -1, vcc_lo
	;; [unrolled: 2-line block ×4, first 2 shown]
	v_cmp_eq_u32_e32 vcc_lo, s29, v3
	v_cndmask_b32_e32 v3, v16, v15, vcc_lo
	v_cmp_eq_u32_e32 vcc_lo, s29, v20
	v_add_nc_u64_e32 v[16:17], 2, v[12:13]
	v_cndmask_b32_e32 v11, v21, v11, vcc_lo
	s_delay_alu instid0(VALU_DEP_4) | instskip(NEXT) | instid1(VALU_DEP_3)
	v_cmp_ne_u32_e32 vcc_lo, 0, v3
	v_cndmask_b32_e32 v3, v19, v17, vcc_lo
	s_delay_alu instid0(VALU_DEP_3) | instskip(SKIP_1) | instid1(VALU_DEP_2)
	v_cmp_ne_u32_e64 s0, 0, v11
	v_dual_cndmask_b32 v11, v18, v16, vcc_lo :: v_dual_bitop2_b32 v10, s26, v10 bitop3:0x14
	v_cndmask_b32_e64 v3, v13, v3, s0
	s_delay_alu instid0(VALU_DEP_2) | instskip(NEXT) | instid1(VALU_DEP_2)
	v_dual_cndmask_b32 v12, v12, v11, s0 :: v_dual_mov_b32 v11, v10
	v_xor_b32_e32 v13, v3, v10
	s_delay_alu instid0(VALU_DEP_2) | instskip(NEXT) | instid1(VALU_DEP_1)
	v_xor_b32_e32 v12, v12, v10
	v_sub_nc_u64_e32 v[10:11], v[12:13], v[10:11]
                                        ; implicit-def: $vgpr12_vgpr13
.LBB25_9:                               ;   in Loop: Header=BB25_3 Depth=1
	s_and_not1_saveexec_b32 s0, s25
	s_cbranch_execz .LBB25_11
; %bb.10:                               ;   in Loop: Header=BB25_3 Depth=1
	v_cvt_f32_u32_e32 v3, s12
	s_sub_co_i32 s2, 0, s12
	s_delay_alu instid0(VALU_DEP_1) | instskip(SKIP_1) | instid1(TRANS32_DEP_1)
	v_rcp_iflag_f32_e32 v3, v3
	v_nop
	v_mul_f32_e32 v3, 0x4f7ffffe, v3
	s_delay_alu instid0(VALU_DEP_1) | instskip(NEXT) | instid1(VALU_DEP_1)
	v_cvt_u32_f32_e32 v3, v3
	v_mul_lo_u32 v10, s2, v3
	s_delay_alu instid0(VALU_DEP_1) | instskip(NEXT) | instid1(VALU_DEP_1)
	v_mul_hi_u32 v10, v3, v10
	v_add_nc_u32_e32 v3, v3, v10
	s_delay_alu instid0(VALU_DEP_1) | instskip(NEXT) | instid1(VALU_DEP_1)
	v_mul_hi_u32 v3, v12, v3
	v_mul_lo_u32 v10, v3, s12
	s_delay_alu instid0(VALU_DEP_1) | instskip(NEXT) | instid1(VALU_DEP_1)
	v_dual_add_nc_u32 v11, 1, v3 :: v_dual_sub_nc_u32 v10, v12, v10
	v_subrev_nc_u32_e32 v12, s12, v10
	v_cmp_le_u32_e32 vcc_lo, s12, v10
	s_delay_alu instid0(VALU_DEP_2) | instskip(NEXT) | instid1(VALU_DEP_1)
	v_dual_cndmask_b32 v10, v10, v12 :: v_dual_cndmask_b32 v3, v3, v11
	v_cmp_le_u32_e32 vcc_lo, s12, v10
	s_delay_alu instid0(VALU_DEP_2) | instskip(NEXT) | instid1(VALU_DEP_1)
	v_add_nc_u32_e32 v11, 1, v3
	v_dual_cndmask_b32 v10, v3, v11 :: v_dual_mov_b32 v11, v2
.LBB25_11:                              ;   in Loop: Header=BB25_3 Depth=1
	s_or_b32 exec_lo, exec_lo, s0
	s_delay_alu instid0(VALU_DEP_1) | instskip(SKIP_1) | instid1(VALU_DEP_1)
	v_or_b32_e32 v3, s11, v11
                                        ; implicit-def: $vgpr12_vgpr13
	s_mov_b32 s0, exec_lo
	v_cmpx_ne_u64_e32 0, v[2:3]
	s_xor_b32 s25, exec_lo, s0
	s_cbranch_execz .LBB25_13
; %bb.12:                               ;   in Loop: Header=BB25_3 Depth=1
	s_ashr_i32 s28, s11, 31
	v_dual_mov_b32 v19, v2 :: v_dual_ashrrev_i32 v12, 31, v11
	s_mov_b32 s29, s28
	v_mov_b32_e32 v23, v2
	s_add_nc_u64 s[30:31], s[10:11], s[28:29]
	s_delay_alu instid0(VALU_DEP_2)
	v_mov_b32_e32 v13, v12
	s_xor_b64 s[30:31], s[30:31], s[28:29]
	v_mov_b32_e32 v27, v2
	s_cvt_f32_u32 s0, s30
	s_cvt_f32_u32 s2, s31
	s_sub_nc_u64 s[36:37], 0, s[30:31]
	v_add_nc_u64_e32 v[16:17], v[10:11], v[12:13]
	s_delay_alu instid0(SALU_CYCLE_1) | instskip(NEXT) | instid1(SALU_CYCLE_3)
	s_fmamk_f32 s0, s2, 0x4f800000, s0
	v_s_rcp_f32 s0, s0
	s_delay_alu instid0(VALU_DEP_1) | instskip(NEXT) | instid1(VALU_DEP_2)
	v_xor_b32_e32 v18, v16, v12
	v_xor_b32_e32 v22, v17, v12
	s_delay_alu instid0(TRANS32_DEP_1) | instskip(NEXT) | instid1(SALU_CYCLE_3)
	s_mul_f32 s0, s0, 0x5f7ffffc
	s_mul_f32 s2, s0, 0x2f800000
	s_delay_alu instid0(SALU_CYCLE_3) | instskip(NEXT) | instid1(SALU_CYCLE_3)
	s_trunc_f32 s2, s2
	s_fmamk_f32 s0, s2, 0xcf800000, s0
	s_cvt_u32_f32 s35, s2
	s_delay_alu instid0(SALU_CYCLE_2) | instskip(NEXT) | instid1(SALU_CYCLE_3)
	s_cvt_u32_f32 s34, s0
	s_mul_u64 s[38:39], s[36:37], s[34:35]
	s_delay_alu instid0(SALU_CYCLE_1)
	s_mul_hi_u32 s41, s34, s39
	s_mul_i32 s40, s34, s39
	s_mul_hi_u32 s2, s34, s38
	s_mul_i32 s27, s35, s38
	s_add_nc_u64 s[40:41], s[2:3], s[40:41]
	s_mul_hi_u32 s0, s35, s38
	s_mul_hi_u32 s29, s35, s39
	s_add_co_u32 s2, s40, s27
	s_add_co_ci_u32 s2, s41, s0
	s_mul_i32 s38, s35, s39
	s_add_co_ci_u32 s39, s29, 0
	s_delay_alu instid0(SALU_CYCLE_1) | instskip(NEXT) | instid1(SALU_CYCLE_1)
	s_add_nc_u64 s[38:39], s[2:3], s[38:39]
	s_add_co_u32 s34, s34, s38
	s_cselect_b32 s0, -1, 0
	s_delay_alu instid0(SALU_CYCLE_1) | instskip(SKIP_1) | instid1(SALU_CYCLE_1)
	s_cmp_lg_u32 s0, 0
	s_add_co_ci_u32 s35, s35, s39
	s_mul_u64 s[36:37], s[36:37], s[34:35]
	s_delay_alu instid0(SALU_CYCLE_1)
	s_mul_hi_u32 s39, s34, s37
	s_mul_i32 s38, s34, s37
	s_mul_hi_u32 s2, s34, s36
	s_mul_i32 s27, s35, s36
	s_add_nc_u64 s[38:39], s[2:3], s[38:39]
	s_mul_hi_u32 s0, s35, s36
	s_mul_hi_u32 s29, s35, s37
	s_add_co_u32 s2, s38, s27
	s_add_co_ci_u32 s2, s39, s0
	s_mul_i32 s36, s35, s37
	s_add_co_ci_u32 s37, s29, 0
	s_delay_alu instid0(SALU_CYCLE_1) | instskip(NEXT) | instid1(SALU_CYCLE_1)
	s_add_nc_u64 s[36:37], s[2:3], s[36:37]
	s_add_co_u32 s0, s34, s36
	s_cselect_b32 s2, -1, 0
	v_mul_hi_u32 v26, v18, s0
	s_cmp_lg_u32 s2, 0
	s_add_co_ci_u32 s2, s35, s37
	s_and_b64 s[34:35], s[0:1], s[6:7]
	v_mul_u64_e32 v[20:21], s[2:3], v[18:19]
	v_mul_u64_e32 v[16:17], s[34:35], v[22:23]
	;; [unrolled: 1-line block ×3, first 2 shown]
	s_delay_alu instid0(VALU_DEP_3) | instskip(NEXT) | instid1(VALU_DEP_1)
	v_add_nc_u64_e32 v[20:21], v[26:27], v[20:21]
	v_add_co_u32 v3, vcc_lo, v20, v16
	s_delay_alu instid0(VALU_DEP_2) | instskip(NEXT) | instid1(VALU_DEP_4)
	v_add_co_ci_u32_e32 v26, vcc_lo, v21, v17, vcc_lo
	v_add_co_ci_u32_e32 v25, vcc_lo, 0, v25, vcc_lo
	s_delay_alu instid0(VALU_DEP_1) | instskip(NEXT) | instid1(VALU_DEP_1)
	v_add_nc_u64_e32 v[16:17], v[26:27], v[24:25]
	v_mul_u64_e32 v[20:21], s[30:31], v[16:17]
	s_delay_alu instid0(VALU_DEP_1) | instskip(NEXT) | instid1(VALU_DEP_2)
	v_sub_nc_u32_e32 v3, v22, v21
	v_sub_co_u32 v11, vcc_lo, v18, v20
	s_delay_alu instid0(VALU_DEP_1) | instskip(NEXT) | instid1(VALU_DEP_3)
	v_sub_co_ci_u32_e64 v15, null, v22, v21, vcc_lo
	v_subrev_co_ci_u32_e64 v3, null, s31, v3, vcc_lo
	s_delay_alu instid0(VALU_DEP_3) | instskip(SKIP_1) | instid1(VALU_DEP_3)
	v_sub_co_u32 v13, s0, v11, s30
	v_add_nc_u64_e32 v[20:21], 1, v[16:17]
	v_subrev_co_ci_u32_e64 v3, null, 0, v3, s0
	s_delay_alu instid0(VALU_DEP_3) | instskip(SKIP_1) | instid1(VALU_DEP_3)
	v_cmp_le_u32_e32 vcc_lo, s30, v13
	v_cndmask_b32_e64 v13, 0, -1, vcc_lo
	v_cmp_le_u32_e32 vcc_lo, s31, v3
	v_cndmask_b32_e64 v18, 0, -1, vcc_lo
	;; [unrolled: 2-line block ×4, first 2 shown]
	v_cmp_eq_u32_e32 vcc_lo, s31, v3
	v_cndmask_b32_e32 v3, v18, v13, vcc_lo
	v_cmp_eq_u32_e32 vcc_lo, s31, v15
	v_add_nc_u64_e32 v[18:19], 2, v[16:17]
	v_cndmask_b32_e32 v11, v22, v11, vcc_lo
	s_delay_alu instid0(VALU_DEP_4) | instskip(NEXT) | instid1(VALU_DEP_2)
	v_cmp_ne_u32_e32 vcc_lo, 0, v3
	v_cmp_ne_u32_e64 s0, 0, v11
	s_delay_alu instid0(VALU_DEP_4) | instskip(NEXT) | instid1(VALU_DEP_1)
	v_dual_cndmask_b32 v3, v21, v19, vcc_lo :: v_dual_cndmask_b32 v11, v20, v18, vcc_lo
	v_dual_cndmask_b32 v3, v17, v3, s0 :: v_dual_bitop2_b32 v12, s28, v12 bitop3:0x14
	s_delay_alu instid0(VALU_DEP_1) | instskip(NEXT) | instid1(VALU_DEP_1)
	v_dual_cndmask_b32 v11, v16, v11, s0 :: v_dual_bitop2_b32 v17, v3, v12 bitop3:0x14
	v_dual_mov_b32 v13, v12 :: v_dual_bitop2_b32 v16, v11, v12 bitop3:0x14
	s_delay_alu instid0(VALU_DEP_1)
	v_sub_nc_u64_e32 v[12:13], v[16:17], v[12:13]
.LBB25_13:                              ;   in Loop: Header=BB25_3 Depth=1
	s_and_not1_saveexec_b32 s0, s25
	s_cbranch_execz .LBB25_2
; %bb.14:                               ;   in Loop: Header=BB25_3 Depth=1
	v_cvt_f32_u32_e32 v3, s10
	s_sub_co_i32 s2, 0, s10
	s_delay_alu instid0(VALU_DEP_1) | instskip(SKIP_1) | instid1(TRANS32_DEP_1)
	v_rcp_iflag_f32_e32 v3, v3
	v_nop
	v_mul_f32_e32 v3, 0x4f7ffffe, v3
	s_delay_alu instid0(VALU_DEP_1) | instskip(NEXT) | instid1(VALU_DEP_1)
	v_cvt_u32_f32_e32 v3, v3
	v_mul_lo_u32 v11, s2, v3
	s_delay_alu instid0(VALU_DEP_1) | instskip(NEXT) | instid1(VALU_DEP_1)
	v_mul_hi_u32 v11, v3, v11
	v_add_nc_u32_e32 v3, v3, v11
	s_delay_alu instid0(VALU_DEP_1) | instskip(NEXT) | instid1(VALU_DEP_1)
	v_mul_hi_u32 v3, v10, v3
	v_mul_lo_u32 v11, v3, s10
	s_delay_alu instid0(VALU_DEP_1) | instskip(NEXT) | instid1(VALU_DEP_1)
	v_sub_nc_u32_e32 v11, v10, v11
	v_subrev_nc_u32_e32 v13, s10, v11
	v_cmp_le_u32_e32 vcc_lo, s10, v11
	s_delay_alu instid0(VALU_DEP_2) | instskip(NEXT) | instid1(VALU_DEP_1)
	v_dual_cndmask_b32 v11, v11, v13 :: v_dual_add_nc_u32 v12, 1, v3
	v_cndmask_b32_e32 v3, v3, v12, vcc_lo
	s_delay_alu instid0(VALU_DEP_2) | instskip(NEXT) | instid1(VALU_DEP_2)
	v_cmp_le_u32_e32 vcc_lo, s10, v11
	v_add_nc_u32_e32 v12, 1, v3
	s_delay_alu instid0(VALU_DEP_1)
	v_cndmask_b32_e32 v12, v3, v12, vcc_lo
	s_branch .LBB25_2
.LBB25_15:
	s_endpgm
	.section	.rodata,"a",@progbits
	.p2align	6, 0x0
	.amdhsa_kernel _ZN2at6native31max_unpooling2d_backward_kernelIN3c104HalfEEEvlPKT_PKllllllPS4_
		.amdhsa_group_segment_fixed_size 0
		.amdhsa_private_segment_fixed_size 0
		.amdhsa_kernarg_size 328
		.amdhsa_user_sgpr_count 2
		.amdhsa_user_sgpr_dispatch_ptr 0
		.amdhsa_user_sgpr_queue_ptr 0
		.amdhsa_user_sgpr_kernarg_segment_ptr 1
		.amdhsa_user_sgpr_dispatch_id 0
		.amdhsa_user_sgpr_kernarg_preload_length 0
		.amdhsa_user_sgpr_kernarg_preload_offset 0
		.amdhsa_user_sgpr_private_segment_size 0
		.amdhsa_wavefront_size32 1
		.amdhsa_uses_dynamic_stack 0
		.amdhsa_enable_private_segment 0
		.amdhsa_system_sgpr_workgroup_id_x 1
		.amdhsa_system_sgpr_workgroup_id_y 0
		.amdhsa_system_sgpr_workgroup_id_z 0
		.amdhsa_system_sgpr_workgroup_info 0
		.amdhsa_system_vgpr_workitem_id 0
		.amdhsa_next_free_vgpr 28
		.amdhsa_next_free_sgpr 42
		.amdhsa_named_barrier_count 0
		.amdhsa_reserve_vcc 1
		.amdhsa_float_round_mode_32 0
		.amdhsa_float_round_mode_16_64 0
		.amdhsa_float_denorm_mode_32 3
		.amdhsa_float_denorm_mode_16_64 3
		.amdhsa_fp16_overflow 0
		.amdhsa_memory_ordered 1
		.amdhsa_forward_progress 1
		.amdhsa_inst_pref_size 21
		.amdhsa_round_robin_scheduling 0
		.amdhsa_exception_fp_ieee_invalid_op 0
		.amdhsa_exception_fp_denorm_src 0
		.amdhsa_exception_fp_ieee_div_zero 0
		.amdhsa_exception_fp_ieee_overflow 0
		.amdhsa_exception_fp_ieee_underflow 0
		.amdhsa_exception_fp_ieee_inexact 0
		.amdhsa_exception_int_div_zero 0
	.end_amdhsa_kernel
	.section	.text._ZN2at6native31max_unpooling2d_backward_kernelIN3c104HalfEEEvlPKT_PKllllllPS4_,"axG",@progbits,_ZN2at6native31max_unpooling2d_backward_kernelIN3c104HalfEEEvlPKT_PKllllllPS4_,comdat
.Lfunc_end25:
	.size	_ZN2at6native31max_unpooling2d_backward_kernelIN3c104HalfEEEvlPKT_PKllllllPS4_, .Lfunc_end25-_ZN2at6native31max_unpooling2d_backward_kernelIN3c104HalfEEEvlPKT_PKllllllPS4_
                                        ; -- End function
	.set _ZN2at6native31max_unpooling2d_backward_kernelIN3c104HalfEEEvlPKT_PKllllllPS4_.num_vgpr, 28
	.set _ZN2at6native31max_unpooling2d_backward_kernelIN3c104HalfEEEvlPKT_PKllllllPS4_.num_agpr, 0
	.set _ZN2at6native31max_unpooling2d_backward_kernelIN3c104HalfEEEvlPKT_PKllllllPS4_.numbered_sgpr, 42
	.set _ZN2at6native31max_unpooling2d_backward_kernelIN3c104HalfEEEvlPKT_PKllllllPS4_.num_named_barrier, 0
	.set _ZN2at6native31max_unpooling2d_backward_kernelIN3c104HalfEEEvlPKT_PKllllllPS4_.private_seg_size, 0
	.set _ZN2at6native31max_unpooling2d_backward_kernelIN3c104HalfEEEvlPKT_PKllllllPS4_.uses_vcc, 1
	.set _ZN2at6native31max_unpooling2d_backward_kernelIN3c104HalfEEEvlPKT_PKllllllPS4_.uses_flat_scratch, 0
	.set _ZN2at6native31max_unpooling2d_backward_kernelIN3c104HalfEEEvlPKT_PKllllllPS4_.has_dyn_sized_stack, 0
	.set _ZN2at6native31max_unpooling2d_backward_kernelIN3c104HalfEEEvlPKT_PKllllllPS4_.has_recursion, 0
	.set _ZN2at6native31max_unpooling2d_backward_kernelIN3c104HalfEEEvlPKT_PKllllllPS4_.has_indirect_call, 0
	.section	.AMDGPU.csdata,"",@progbits
; Kernel info:
; codeLenInByte = 2600
; TotalNumSgprs: 44
; NumVgprs: 28
; ScratchSize: 0
; MemoryBound: 0
; FloatMode: 240
; IeeeMode: 1
; LDSByteSize: 0 bytes/workgroup (compile time only)
; SGPRBlocks: 0
; VGPRBlocks: 1
; NumSGPRsForWavesPerEU: 44
; NumVGPRsForWavesPerEU: 28
; NamedBarCnt: 0
; Occupancy: 16
; WaveLimiterHint : 1
; COMPUTE_PGM_RSRC2:SCRATCH_EN: 0
; COMPUTE_PGM_RSRC2:USER_SGPR: 2
; COMPUTE_PGM_RSRC2:TRAP_HANDLER: 0
; COMPUTE_PGM_RSRC2:TGID_X_EN: 1
; COMPUTE_PGM_RSRC2:TGID_Y_EN: 0
; COMPUTE_PGM_RSRC2:TGID_Z_EN: 0
; COMPUTE_PGM_RSRC2:TIDIG_COMP_CNT: 0
	.section	.text._ZN2at6native31max_unpooling2d_backward_kernelIN3c108BFloat16EEEvlPKT_PKllllllPS4_,"axG",@progbits,_ZN2at6native31max_unpooling2d_backward_kernelIN3c108BFloat16EEEvlPKT_PKllllllPS4_,comdat
	.protected	_ZN2at6native31max_unpooling2d_backward_kernelIN3c108BFloat16EEEvlPKT_PKllllllPS4_ ; -- Begin function _ZN2at6native31max_unpooling2d_backward_kernelIN3c108BFloat16EEEvlPKT_PKllllllPS4_
	.globl	_ZN2at6native31max_unpooling2d_backward_kernelIN3c108BFloat16EEEvlPKT_PKllllllPS4_
	.p2align	8
	.type	_ZN2at6native31max_unpooling2d_backward_kernelIN3c108BFloat16EEEvlPKT_PKllllllPS4_,@function
_ZN2at6native31max_unpooling2d_backward_kernelIN3c108BFloat16EEEvlPKT_PKllllllPS4_: ; @_ZN2at6native31max_unpooling2d_backward_kernelIN3c108BFloat16EEEvlPKT_PKllllllPS4_
; %bb.0:
	s_load_b32 s2, s[0:1], 0x54
	s_bfe_u32 s4, ttmp6, 0x4000c
	v_mov_b32_e32 v2, 0
	s_add_co_i32 s21, s4, 1
	s_load_b512 s[4:19], s[0:1], 0x0
	s_and_b32 s3, ttmp6, 15
	s_mul_i32 s21, ttmp9, s21
	s_getreg_b32 s20, hwreg(HW_REG_IB_STS2, 6, 4)
	v_mov_b32_e32 v1, v2
	s_add_co_i32 s3, s3, s21
	s_wait_kmcnt 0x0
	s_and_b32 s2, s2, 0xffff
	s_cmp_eq_u32 s20, 0
	s_mov_b32 s20, exec_lo
	s_cselect_b32 s3, ttmp9, s3
	s_delay_alu instid0(SALU_CYCLE_1) | instskip(SKIP_1) | instid1(VALU_DEP_1)
	v_mad_nc_u64_u32 v[0:1], s2, s3, v[0:1]
	s_mov_b32 s3, 0
	v_cmpx_gt_i64_e64 s[4:5], v[0:1]
	s_cbranch_execz .LBB26_15
; %bb.1:
	v_cvt_f32_u32_e32 v3, s14
	s_sub_co_i32 s22, 0, s14
	s_add_nc_u64 s[20:21], s[0:1], 0x48
	v_mov_b64_e32 v[4:5], s[6:7]
	s_load_b32 s23, s[20:21], 0x0
	v_rcp_iflag_f32_e32 v3, v3
	s_wait_xcnt 0x0
	s_load_b64 s[20:21], s[0:1], 0x40
	s_mul_u64 s[16:17], s[18:19], s[16:17]
	s_mov_b32 s19, s3
	s_mov_b64 s[6:7], 0xffffffff
	s_ashr_i32 s24, s15, 31
	s_ashr_i32 s26, s13, 31
	v_nop
	v_mul_f32_e32 v3, 0x4f7ffffe, v3
	s_wait_xcnt 0x0
	s_mov_b32 s1, 0
	s_delay_alu instid0(VALU_DEP_1) | instskip(NEXT) | instid1(VALU_DEP_1)
	v_cvt_u32_f32_e32 v6, v3
	v_mul_lo_u32 v3, s22, v6
	s_mov_b32 s22, s3
	s_wait_kmcnt 0x0
	s_mul_i32 s18, s23, s2
	s_delay_alu instid0(SALU_CYCLE_1) | instskip(NEXT) | instid1(VALU_DEP_1)
	s_mov_b32 s23, s18
	v_mul_hi_u32 v7, v6, v3
	s_delay_alu instid0(VALU_DEP_1) | instskip(NEXT) | instid1(VALU_DEP_1)
	v_dual_mov_b32 v3, v0 :: v_dual_add_nc_u32 v14, v6, v7
	v_mov_b64_e32 v[6:7], v[2:3]
	s_branch .LBB26_3
.LBB26_2:                               ;   in Loop: Header=BB26_3 Depth=1
	s_or_b32 exec_lo, exec_lo, s0
	v_lshl_add_u64 v[16:17], v[8:9], 3, s[8:9]
	s_delay_alu instid0(VALU_DEP_2)
	v_mul_lo_u32 v11, v12, s10
	v_add_nc_u64_e32 v[0:1], s[18:19], v[0:1]
	v_add_nc_u64_e32 v[6:7], s[22:23], v[6:7]
	v_lshl_add_u64 v[8:9], v[8:9], 1, s[20:21]
	global_load_b32 v3, v[16:17], off
	v_ashrrev_i32_e32 v13, 31, v12
	v_cmp_le_i64_e32 vcc_lo, s[4:5], v[0:1]
	v_sub_nc_u32_e32 v10, v10, v11
	s_or_b32 s1, vcc_lo, s1
	s_delay_alu instid0(VALU_DEP_1) | instskip(NEXT) | instid1(VALU_DEP_1)
	v_ashrrev_i32_e32 v11, 31, v10
	v_mad_nc_u64_u32 v[10:11], v12, s10, v[10:11]
	s_delay_alu instid0(VALU_DEP_1) | instskip(NEXT) | instid1(VALU_DEP_1)
	v_mad_u32 v11, v13, s10, v11
	v_mad_u32 v11, v12, s11, v11
	s_delay_alu instid0(VALU_DEP_1) | instskip(NEXT) | instid1(VALU_DEP_1)
	v_mul_u64_e32 v[10:11], s[16:17], v[10:11]
	v_lshl_add_u64 v[4:5], v[10:11], 1, v[4:5]
	s_wait_loadcnt 0x0
	v_ashrrev_i64 v[12:13], 31, v[2:3]
	s_delay_alu instid0(VALU_DEP_1)
	v_add_nc_u64_e32 v[10:11], v[4:5], v[12:13]
	global_load_u16 v3, v[10:11], off
	s_wait_loadcnt 0x0
	global_store_b16 v[8:9], v3, off
	s_wait_xcnt 0x0
	s_and_not1_b32 exec_lo, exec_lo, s1
	s_cbranch_execz .LBB26_15
.LBB26_3:                               ; =>This Inner Loop Header: Depth=1
	s_delay_alu instid0(VALU_DEP_1) | instskip(SKIP_1) | instid1(VALU_DEP_1)
	v_dual_mov_b32 v8, v7 :: v_dual_ashrrev_i32 v9, 31, v7
                                        ; implicit-def: $vgpr12_vgpr13
	s_mov_b32 s0, exec_lo
	v_or_b32_e32 v3, s15, v9
	s_delay_alu instid0(VALU_DEP_1)
	v_cmpx_ne_u64_e32 0, v[2:3]
	s_xor_b32 s27, exec_lo, s0
	s_cbranch_execz .LBB26_5
; %bb.4:                                ;   in Loop: Header=BB26_3 Depth=1
	s_mov_b32 s25, s24
	v_dual_mov_b32 v17, v2 :: v_dual_ashrrev_i32 v10, 31, v9
	s_add_nc_u64 s[28:29], s[14:15], s[24:25]
	s_delay_alu instid0(SALU_CYCLE_1) | instskip(NEXT) | instid1(VALU_DEP_1)
	s_xor_b64 s[28:29], s[28:29], s[24:25]
	v_mov_b32_e32 v11, v10
	s_cvt_f32_u32 s0, s28
	s_cvt_f32_u32 s2, s29
	s_sub_nc_u64 s[34:35], 0, s[28:29]
	s_delay_alu instid0(VALU_DEP_1) | instskip(NEXT) | instid1(SALU_CYCLE_1)
	v_add_nc_u64_e32 v[12:13], v[8:9], v[10:11]
	s_fmamk_f32 s0, s2, 0x4f800000, s0
	v_mov_b32_e32 v21, v2
	s_delay_alu instid0(SALU_CYCLE_2) | instskip(NEXT) | instid1(VALU_DEP_2)
	v_s_rcp_f32 s0, s0
	v_xor_b32_e32 v16, v12, v10
	s_delay_alu instid0(VALU_DEP_3) | instskip(NEXT) | instid1(TRANS32_DEP_1)
	v_dual_mov_b32 v25, v2 :: v_dual_bitop2_b32 v20, v13, v10 bitop3:0x14
	s_mul_f32 s0, s0, 0x5f7ffffc
	s_delay_alu instid0(SALU_CYCLE_3) | instskip(NEXT) | instid1(SALU_CYCLE_3)
	s_mul_f32 s2, s0, 0x2f800000
	s_trunc_f32 s2, s2
	s_delay_alu instid0(SALU_CYCLE_3) | instskip(SKIP_1) | instid1(SALU_CYCLE_2)
	s_fmamk_f32 s0, s2, 0xcf800000, s0
	s_cvt_u32_f32 s31, s2
	s_cvt_u32_f32 s30, s0
	s_delay_alu instid0(SALU_CYCLE_3) | instskip(NEXT) | instid1(SALU_CYCLE_1)
	s_mul_u64 s[36:37], s[34:35], s[30:31]
	s_mul_hi_u32 s39, s30, s37
	s_mul_i32 s38, s30, s37
	s_mul_hi_u32 s2, s30, s36
	s_mul_i32 s25, s31, s36
	s_add_nc_u64 s[38:39], s[2:3], s[38:39]
	s_mul_hi_u32 s0, s31, s36
	s_mul_hi_u32 s33, s31, s37
	s_add_co_u32 s2, s38, s25
	s_add_co_ci_u32 s2, s39, s0
	s_mul_i32 s36, s31, s37
	s_add_co_ci_u32 s37, s33, 0
	s_delay_alu instid0(SALU_CYCLE_1) | instskip(NEXT) | instid1(SALU_CYCLE_1)
	s_add_nc_u64 s[36:37], s[2:3], s[36:37]
	s_add_co_u32 s30, s30, s36
	s_cselect_b32 s0, -1, 0
	s_delay_alu instid0(SALU_CYCLE_1) | instskip(SKIP_1) | instid1(SALU_CYCLE_1)
	s_cmp_lg_u32 s0, 0
	s_add_co_ci_u32 s31, s31, s37
	s_mul_u64 s[34:35], s[34:35], s[30:31]
	s_delay_alu instid0(SALU_CYCLE_1)
	s_mul_hi_u32 s37, s30, s35
	s_mul_i32 s36, s30, s35
	s_mul_hi_u32 s2, s30, s34
	s_mul_i32 s25, s31, s34
	s_add_nc_u64 s[36:37], s[2:3], s[36:37]
	s_mul_hi_u32 s0, s31, s34
	s_mul_hi_u32 s33, s31, s35
	s_add_co_u32 s2, s36, s25
	s_add_co_ci_u32 s2, s37, s0
	s_mul_i32 s34, s31, s35
	s_add_co_ci_u32 s35, s33, 0
	s_delay_alu instid0(SALU_CYCLE_1) | instskip(NEXT) | instid1(SALU_CYCLE_1)
	s_add_nc_u64 s[34:35], s[2:3], s[34:35]
	s_add_co_u32 s0, s30, s34
	s_cselect_b32 s2, -1, 0
	v_mul_hi_u32 v24, v16, s0
	s_cmp_lg_u32 s2, 0
	s_add_co_ci_u32 s2, s31, s35
	s_and_b64 s[30:31], s[0:1], s[6:7]
	v_mul_u64_e32 v[18:19], s[2:3], v[16:17]
	v_mul_u64_e32 v[12:13], s[30:31], v[20:21]
	;; [unrolled: 1-line block ×3, first 2 shown]
	s_delay_alu instid0(VALU_DEP_3) | instskip(NEXT) | instid1(VALU_DEP_1)
	v_add_nc_u64_e32 v[18:19], v[24:25], v[18:19]
	v_add_co_u32 v3, vcc_lo, v18, v12
	s_delay_alu instid0(VALU_DEP_2) | instskip(NEXT) | instid1(VALU_DEP_4)
	v_add_co_ci_u32_e32 v24, vcc_lo, v19, v13, vcc_lo
	v_add_co_ci_u32_e32 v23, vcc_lo, 0, v23, vcc_lo
	s_delay_alu instid0(VALU_DEP_1) | instskip(NEXT) | instid1(VALU_DEP_1)
	v_add_nc_u64_e32 v[12:13], v[24:25], v[22:23]
	v_mul_u64_e32 v[18:19], s[28:29], v[12:13]
	s_delay_alu instid0(VALU_DEP_1) | instskip(NEXT) | instid1(VALU_DEP_2)
	v_sub_nc_u32_e32 v3, v20, v19
	v_sub_co_u32 v11, vcc_lo, v16, v18
	s_delay_alu instid0(VALU_DEP_1) | instskip(NEXT) | instid1(VALU_DEP_3)
	v_sub_co_ci_u32_e64 v20, null, v20, v19, vcc_lo
	v_subrev_co_ci_u32_e64 v3, null, s29, v3, vcc_lo
	s_delay_alu instid0(VALU_DEP_3) | instskip(SKIP_1) | instid1(VALU_DEP_3)
	v_sub_co_u32 v15, s0, v11, s28
	v_add_nc_u64_e32 v[18:19], 1, v[12:13]
	v_subrev_co_ci_u32_e64 v3, null, 0, v3, s0
	s_delay_alu instid0(VALU_DEP_3) | instskip(SKIP_1) | instid1(VALU_DEP_3)
	v_cmp_le_u32_e32 vcc_lo, s28, v15
	v_cndmask_b32_e64 v15, 0, -1, vcc_lo
	v_cmp_le_u32_e32 vcc_lo, s29, v3
	v_cndmask_b32_e64 v16, 0, -1, vcc_lo
	;; [unrolled: 2-line block ×4, first 2 shown]
	v_cmp_eq_u32_e32 vcc_lo, s29, v3
	v_cndmask_b32_e32 v3, v16, v15, vcc_lo
	v_cmp_eq_u32_e32 vcc_lo, s29, v20
	v_add_nc_u64_e32 v[16:17], 2, v[12:13]
	v_cndmask_b32_e32 v11, v21, v11, vcc_lo
	s_delay_alu instid0(VALU_DEP_4) | instskip(NEXT) | instid1(VALU_DEP_3)
	v_cmp_ne_u32_e32 vcc_lo, 0, v3
	v_cndmask_b32_e32 v3, v19, v17, vcc_lo
	s_delay_alu instid0(VALU_DEP_3) | instskip(SKIP_1) | instid1(VALU_DEP_2)
	v_cmp_ne_u32_e64 s0, 0, v11
	v_dual_cndmask_b32 v11, v18, v16, vcc_lo :: v_dual_bitop2_b32 v10, s24, v10 bitop3:0x14
	v_cndmask_b32_e64 v3, v13, v3, s0
	s_delay_alu instid0(VALU_DEP_2) | instskip(NEXT) | instid1(VALU_DEP_2)
	v_dual_cndmask_b32 v12, v12, v11, s0 :: v_dual_mov_b32 v11, v10
	v_xor_b32_e32 v13, v3, v10
	s_delay_alu instid0(VALU_DEP_2) | instskip(NEXT) | instid1(VALU_DEP_1)
	v_xor_b32_e32 v12, v12, v10
	v_sub_nc_u64_e32 v[12:13], v[12:13], v[10:11]
.LBB26_5:                               ;   in Loop: Header=BB26_3 Depth=1
	s_and_not1_saveexec_b32 s0, s27
	s_cbranch_execz .LBB26_7
; %bb.6:                                ;   in Loop: Header=BB26_3 Depth=1
	v_mul_hi_u32 v3, v7, v14
	v_mov_b32_e32 v13, v2
	s_delay_alu instid0(VALU_DEP_2) | instskip(NEXT) | instid1(VALU_DEP_1)
	v_mul_lo_u32 v10, v3, s14
	v_dual_add_nc_u32 v11, 1, v3 :: v_dual_sub_nc_u32 v10, v7, v10
	s_delay_alu instid0(VALU_DEP_1) | instskip(SKIP_1) | instid1(VALU_DEP_2)
	v_subrev_nc_u32_e32 v12, s14, v10
	v_cmp_le_u32_e32 vcc_lo, s14, v10
	v_dual_cndmask_b32 v10, v10, v12 :: v_dual_cndmask_b32 v3, v3, v11
	s_delay_alu instid0(VALU_DEP_1) | instskip(NEXT) | instid1(VALU_DEP_2)
	v_cmp_le_u32_e32 vcc_lo, s14, v10
	v_add_nc_u32_e32 v11, 1, v3
	s_delay_alu instid0(VALU_DEP_1)
	v_cndmask_b32_e32 v12, v3, v11, vcc_lo
.LBB26_7:                               ;   in Loop: Header=BB26_3 Depth=1
	s_or_b32 exec_lo, exec_lo, s0
	s_delay_alu instid0(VALU_DEP_1) | instskip(SKIP_1) | instid1(VALU_DEP_1)
	v_or_b32_e32 v3, s13, v13
                                        ; implicit-def: $vgpr10_vgpr11
	s_mov_b32 s0, exec_lo
	v_cmpx_ne_u64_e32 0, v[2:3]
	s_xor_b32 s25, exec_lo, s0
	s_cbranch_execz .LBB26_9
; %bb.8:                                ;   in Loop: Header=BB26_3 Depth=1
	s_mov_b32 s27, s26
	v_dual_mov_b32 v17, v2 :: v_dual_ashrrev_i32 v10, 31, v13
	s_add_nc_u64 s[28:29], s[12:13], s[26:27]
	s_delay_alu instid0(SALU_CYCLE_1) | instskip(NEXT) | instid1(VALU_DEP_1)
	s_xor_b64 s[28:29], s[28:29], s[26:27]
	v_mov_b32_e32 v11, v10
	s_cvt_f32_u32 s0, s28
	s_cvt_f32_u32 s2, s29
	s_sub_nc_u64 s[34:35], 0, s[28:29]
	s_delay_alu instid0(VALU_DEP_1) | instskip(NEXT) | instid1(SALU_CYCLE_1)
	v_add_nc_u64_e32 v[12:13], v[12:13], v[10:11]
	s_fmamk_f32 s0, s2, 0x4f800000, s0
	v_mov_b32_e32 v21, v2
	s_delay_alu instid0(SALU_CYCLE_2) | instskip(NEXT) | instid1(VALU_DEP_2)
	v_s_rcp_f32 s0, s0
	v_xor_b32_e32 v16, v12, v10
	s_delay_alu instid0(VALU_DEP_3) | instskip(NEXT) | instid1(TRANS32_DEP_1)
	v_dual_mov_b32 v25, v2 :: v_dual_bitop2_b32 v20, v13, v10 bitop3:0x14
	s_mul_f32 s0, s0, 0x5f7ffffc
	s_delay_alu instid0(SALU_CYCLE_3) | instskip(NEXT) | instid1(SALU_CYCLE_3)
	s_mul_f32 s2, s0, 0x2f800000
	s_trunc_f32 s2, s2
	s_delay_alu instid0(SALU_CYCLE_3) | instskip(SKIP_1) | instid1(SALU_CYCLE_2)
	s_fmamk_f32 s0, s2, 0xcf800000, s0
	s_cvt_u32_f32 s31, s2
	s_cvt_u32_f32 s30, s0
	s_delay_alu instid0(SALU_CYCLE_3) | instskip(NEXT) | instid1(SALU_CYCLE_1)
	s_mul_u64 s[36:37], s[34:35], s[30:31]
	s_mul_hi_u32 s39, s30, s37
	s_mul_i32 s38, s30, s37
	s_mul_hi_u32 s2, s30, s36
	s_mul_i32 s27, s31, s36
	s_add_nc_u64 s[38:39], s[2:3], s[38:39]
	s_mul_hi_u32 s0, s31, s36
	s_mul_hi_u32 s33, s31, s37
	s_add_co_u32 s2, s38, s27
	s_add_co_ci_u32 s2, s39, s0
	s_mul_i32 s36, s31, s37
	s_add_co_ci_u32 s37, s33, 0
	s_delay_alu instid0(SALU_CYCLE_1) | instskip(NEXT) | instid1(SALU_CYCLE_1)
	s_add_nc_u64 s[36:37], s[2:3], s[36:37]
	s_add_co_u32 s30, s30, s36
	s_cselect_b32 s0, -1, 0
	s_delay_alu instid0(SALU_CYCLE_1) | instskip(SKIP_1) | instid1(SALU_CYCLE_1)
	s_cmp_lg_u32 s0, 0
	s_add_co_ci_u32 s31, s31, s37
	s_mul_u64 s[34:35], s[34:35], s[30:31]
	s_delay_alu instid0(SALU_CYCLE_1)
	s_mul_hi_u32 s37, s30, s35
	s_mul_i32 s36, s30, s35
	s_mul_hi_u32 s2, s30, s34
	s_mul_i32 s27, s31, s34
	s_add_nc_u64 s[36:37], s[2:3], s[36:37]
	s_mul_hi_u32 s0, s31, s34
	s_mul_hi_u32 s33, s31, s35
	s_add_co_u32 s2, s36, s27
	s_add_co_ci_u32 s2, s37, s0
	s_mul_i32 s34, s31, s35
	s_add_co_ci_u32 s35, s33, 0
	s_delay_alu instid0(SALU_CYCLE_1) | instskip(NEXT) | instid1(SALU_CYCLE_1)
	s_add_nc_u64 s[34:35], s[2:3], s[34:35]
	s_add_co_u32 s0, s30, s34
	s_cselect_b32 s2, -1, 0
	v_mul_hi_u32 v24, v16, s0
	s_cmp_lg_u32 s2, 0
	s_add_co_ci_u32 s2, s31, s35
	s_and_b64 s[30:31], s[0:1], s[6:7]
	v_mul_u64_e32 v[18:19], s[2:3], v[16:17]
	v_mul_u64_e32 v[12:13], s[30:31], v[20:21]
	;; [unrolled: 1-line block ×3, first 2 shown]
	s_delay_alu instid0(VALU_DEP_3) | instskip(NEXT) | instid1(VALU_DEP_1)
	v_add_nc_u64_e32 v[18:19], v[24:25], v[18:19]
	v_add_co_u32 v3, vcc_lo, v18, v12
	s_delay_alu instid0(VALU_DEP_2) | instskip(NEXT) | instid1(VALU_DEP_4)
	v_add_co_ci_u32_e32 v24, vcc_lo, v19, v13, vcc_lo
	v_add_co_ci_u32_e32 v23, vcc_lo, 0, v23, vcc_lo
	s_delay_alu instid0(VALU_DEP_1) | instskip(NEXT) | instid1(VALU_DEP_1)
	v_add_nc_u64_e32 v[12:13], v[24:25], v[22:23]
	v_mul_u64_e32 v[18:19], s[28:29], v[12:13]
	s_delay_alu instid0(VALU_DEP_1) | instskip(NEXT) | instid1(VALU_DEP_2)
	v_sub_nc_u32_e32 v3, v20, v19
	v_sub_co_u32 v11, vcc_lo, v16, v18
	s_delay_alu instid0(VALU_DEP_1) | instskip(NEXT) | instid1(VALU_DEP_3)
	v_sub_co_ci_u32_e64 v20, null, v20, v19, vcc_lo
	v_subrev_co_ci_u32_e64 v3, null, s29, v3, vcc_lo
	s_delay_alu instid0(VALU_DEP_3) | instskip(SKIP_1) | instid1(VALU_DEP_3)
	v_sub_co_u32 v15, s0, v11, s28
	v_add_nc_u64_e32 v[18:19], 1, v[12:13]
	v_subrev_co_ci_u32_e64 v3, null, 0, v3, s0
	s_delay_alu instid0(VALU_DEP_3) | instskip(SKIP_1) | instid1(VALU_DEP_3)
	v_cmp_le_u32_e32 vcc_lo, s28, v15
	v_cndmask_b32_e64 v15, 0, -1, vcc_lo
	v_cmp_le_u32_e32 vcc_lo, s29, v3
	v_cndmask_b32_e64 v16, 0, -1, vcc_lo
	;; [unrolled: 2-line block ×4, first 2 shown]
	v_cmp_eq_u32_e32 vcc_lo, s29, v3
	v_cndmask_b32_e32 v3, v16, v15, vcc_lo
	v_cmp_eq_u32_e32 vcc_lo, s29, v20
	v_add_nc_u64_e32 v[16:17], 2, v[12:13]
	v_cndmask_b32_e32 v11, v21, v11, vcc_lo
	s_delay_alu instid0(VALU_DEP_4) | instskip(NEXT) | instid1(VALU_DEP_3)
	v_cmp_ne_u32_e32 vcc_lo, 0, v3
	v_cndmask_b32_e32 v3, v19, v17, vcc_lo
	s_delay_alu instid0(VALU_DEP_3) | instskip(SKIP_1) | instid1(VALU_DEP_2)
	v_cmp_ne_u32_e64 s0, 0, v11
	v_dual_cndmask_b32 v11, v18, v16, vcc_lo :: v_dual_bitop2_b32 v10, s26, v10 bitop3:0x14
	v_cndmask_b32_e64 v3, v13, v3, s0
	s_delay_alu instid0(VALU_DEP_2) | instskip(NEXT) | instid1(VALU_DEP_2)
	v_dual_cndmask_b32 v12, v12, v11, s0 :: v_dual_mov_b32 v11, v10
	v_xor_b32_e32 v13, v3, v10
	s_delay_alu instid0(VALU_DEP_2) | instskip(NEXT) | instid1(VALU_DEP_1)
	v_xor_b32_e32 v12, v12, v10
	v_sub_nc_u64_e32 v[10:11], v[12:13], v[10:11]
                                        ; implicit-def: $vgpr12_vgpr13
.LBB26_9:                               ;   in Loop: Header=BB26_3 Depth=1
	s_and_not1_saveexec_b32 s0, s25
	s_cbranch_execz .LBB26_11
; %bb.10:                               ;   in Loop: Header=BB26_3 Depth=1
	v_cvt_f32_u32_e32 v3, s12
	s_sub_co_i32 s2, 0, s12
	s_delay_alu instid0(VALU_DEP_1) | instskip(SKIP_1) | instid1(TRANS32_DEP_1)
	v_rcp_iflag_f32_e32 v3, v3
	v_nop
	v_mul_f32_e32 v3, 0x4f7ffffe, v3
	s_delay_alu instid0(VALU_DEP_1) | instskip(NEXT) | instid1(VALU_DEP_1)
	v_cvt_u32_f32_e32 v3, v3
	v_mul_lo_u32 v10, s2, v3
	s_delay_alu instid0(VALU_DEP_1) | instskip(NEXT) | instid1(VALU_DEP_1)
	v_mul_hi_u32 v10, v3, v10
	v_add_nc_u32_e32 v3, v3, v10
	s_delay_alu instid0(VALU_DEP_1) | instskip(NEXT) | instid1(VALU_DEP_1)
	v_mul_hi_u32 v3, v12, v3
	v_mul_lo_u32 v10, v3, s12
	s_delay_alu instid0(VALU_DEP_1) | instskip(NEXT) | instid1(VALU_DEP_1)
	v_dual_add_nc_u32 v11, 1, v3 :: v_dual_sub_nc_u32 v10, v12, v10
	v_subrev_nc_u32_e32 v12, s12, v10
	v_cmp_le_u32_e32 vcc_lo, s12, v10
	s_delay_alu instid0(VALU_DEP_2) | instskip(NEXT) | instid1(VALU_DEP_1)
	v_dual_cndmask_b32 v10, v10, v12 :: v_dual_cndmask_b32 v3, v3, v11
	v_cmp_le_u32_e32 vcc_lo, s12, v10
	s_delay_alu instid0(VALU_DEP_2) | instskip(NEXT) | instid1(VALU_DEP_1)
	v_add_nc_u32_e32 v11, 1, v3
	v_dual_cndmask_b32 v10, v3, v11 :: v_dual_mov_b32 v11, v2
.LBB26_11:                              ;   in Loop: Header=BB26_3 Depth=1
	s_or_b32 exec_lo, exec_lo, s0
	s_delay_alu instid0(VALU_DEP_1) | instskip(SKIP_1) | instid1(VALU_DEP_1)
	v_or_b32_e32 v3, s11, v11
                                        ; implicit-def: $vgpr12_vgpr13
	s_mov_b32 s0, exec_lo
	v_cmpx_ne_u64_e32 0, v[2:3]
	s_xor_b32 s25, exec_lo, s0
	s_cbranch_execz .LBB26_13
; %bb.12:                               ;   in Loop: Header=BB26_3 Depth=1
	s_ashr_i32 s28, s11, 31
	v_dual_mov_b32 v19, v2 :: v_dual_ashrrev_i32 v12, 31, v11
	s_mov_b32 s29, s28
	v_mov_b32_e32 v23, v2
	s_add_nc_u64 s[30:31], s[10:11], s[28:29]
	s_delay_alu instid0(VALU_DEP_2)
	v_mov_b32_e32 v13, v12
	s_xor_b64 s[30:31], s[30:31], s[28:29]
	v_mov_b32_e32 v27, v2
	s_cvt_f32_u32 s0, s30
	s_cvt_f32_u32 s2, s31
	s_sub_nc_u64 s[36:37], 0, s[30:31]
	v_add_nc_u64_e32 v[16:17], v[10:11], v[12:13]
	s_delay_alu instid0(SALU_CYCLE_1) | instskip(NEXT) | instid1(SALU_CYCLE_3)
	s_fmamk_f32 s0, s2, 0x4f800000, s0
	v_s_rcp_f32 s0, s0
	s_delay_alu instid0(VALU_DEP_1) | instskip(NEXT) | instid1(VALU_DEP_2)
	v_xor_b32_e32 v18, v16, v12
	v_xor_b32_e32 v22, v17, v12
	s_delay_alu instid0(TRANS32_DEP_1) | instskip(NEXT) | instid1(SALU_CYCLE_3)
	s_mul_f32 s0, s0, 0x5f7ffffc
	s_mul_f32 s2, s0, 0x2f800000
	s_delay_alu instid0(SALU_CYCLE_3) | instskip(NEXT) | instid1(SALU_CYCLE_3)
	s_trunc_f32 s2, s2
	s_fmamk_f32 s0, s2, 0xcf800000, s0
	s_cvt_u32_f32 s35, s2
	s_delay_alu instid0(SALU_CYCLE_2) | instskip(NEXT) | instid1(SALU_CYCLE_3)
	s_cvt_u32_f32 s34, s0
	s_mul_u64 s[38:39], s[36:37], s[34:35]
	s_delay_alu instid0(SALU_CYCLE_1)
	s_mul_hi_u32 s41, s34, s39
	s_mul_i32 s40, s34, s39
	s_mul_hi_u32 s2, s34, s38
	s_mul_i32 s27, s35, s38
	s_add_nc_u64 s[40:41], s[2:3], s[40:41]
	s_mul_hi_u32 s0, s35, s38
	s_mul_hi_u32 s29, s35, s39
	s_add_co_u32 s2, s40, s27
	s_add_co_ci_u32 s2, s41, s0
	s_mul_i32 s38, s35, s39
	s_add_co_ci_u32 s39, s29, 0
	s_delay_alu instid0(SALU_CYCLE_1) | instskip(NEXT) | instid1(SALU_CYCLE_1)
	s_add_nc_u64 s[38:39], s[2:3], s[38:39]
	s_add_co_u32 s34, s34, s38
	s_cselect_b32 s0, -1, 0
	s_delay_alu instid0(SALU_CYCLE_1) | instskip(SKIP_1) | instid1(SALU_CYCLE_1)
	s_cmp_lg_u32 s0, 0
	s_add_co_ci_u32 s35, s35, s39
	s_mul_u64 s[36:37], s[36:37], s[34:35]
	s_delay_alu instid0(SALU_CYCLE_1)
	s_mul_hi_u32 s39, s34, s37
	s_mul_i32 s38, s34, s37
	s_mul_hi_u32 s2, s34, s36
	s_mul_i32 s27, s35, s36
	s_add_nc_u64 s[38:39], s[2:3], s[38:39]
	s_mul_hi_u32 s0, s35, s36
	s_mul_hi_u32 s29, s35, s37
	s_add_co_u32 s2, s38, s27
	s_add_co_ci_u32 s2, s39, s0
	s_mul_i32 s36, s35, s37
	s_add_co_ci_u32 s37, s29, 0
	s_delay_alu instid0(SALU_CYCLE_1) | instskip(NEXT) | instid1(SALU_CYCLE_1)
	s_add_nc_u64 s[36:37], s[2:3], s[36:37]
	s_add_co_u32 s0, s34, s36
	s_cselect_b32 s2, -1, 0
	v_mul_hi_u32 v26, v18, s0
	s_cmp_lg_u32 s2, 0
	s_add_co_ci_u32 s2, s35, s37
	s_and_b64 s[34:35], s[0:1], s[6:7]
	v_mul_u64_e32 v[20:21], s[2:3], v[18:19]
	v_mul_u64_e32 v[16:17], s[34:35], v[22:23]
	v_mul_u64_e32 v[24:25], s[2:3], v[22:23]
	s_delay_alu instid0(VALU_DEP_3) | instskip(NEXT) | instid1(VALU_DEP_1)
	v_add_nc_u64_e32 v[20:21], v[26:27], v[20:21]
	v_add_co_u32 v3, vcc_lo, v20, v16
	s_delay_alu instid0(VALU_DEP_2) | instskip(NEXT) | instid1(VALU_DEP_4)
	v_add_co_ci_u32_e32 v26, vcc_lo, v21, v17, vcc_lo
	v_add_co_ci_u32_e32 v25, vcc_lo, 0, v25, vcc_lo
	s_delay_alu instid0(VALU_DEP_1) | instskip(NEXT) | instid1(VALU_DEP_1)
	v_add_nc_u64_e32 v[16:17], v[26:27], v[24:25]
	v_mul_u64_e32 v[20:21], s[30:31], v[16:17]
	s_delay_alu instid0(VALU_DEP_1) | instskip(NEXT) | instid1(VALU_DEP_2)
	v_sub_nc_u32_e32 v3, v22, v21
	v_sub_co_u32 v11, vcc_lo, v18, v20
	s_delay_alu instid0(VALU_DEP_1) | instskip(NEXT) | instid1(VALU_DEP_3)
	v_sub_co_ci_u32_e64 v15, null, v22, v21, vcc_lo
	v_subrev_co_ci_u32_e64 v3, null, s31, v3, vcc_lo
	s_delay_alu instid0(VALU_DEP_3) | instskip(SKIP_1) | instid1(VALU_DEP_3)
	v_sub_co_u32 v13, s0, v11, s30
	v_add_nc_u64_e32 v[20:21], 1, v[16:17]
	v_subrev_co_ci_u32_e64 v3, null, 0, v3, s0
	s_delay_alu instid0(VALU_DEP_3) | instskip(SKIP_1) | instid1(VALU_DEP_3)
	v_cmp_le_u32_e32 vcc_lo, s30, v13
	v_cndmask_b32_e64 v13, 0, -1, vcc_lo
	v_cmp_le_u32_e32 vcc_lo, s31, v3
	v_cndmask_b32_e64 v18, 0, -1, vcc_lo
	;; [unrolled: 2-line block ×4, first 2 shown]
	v_cmp_eq_u32_e32 vcc_lo, s31, v3
	v_cndmask_b32_e32 v3, v18, v13, vcc_lo
	v_cmp_eq_u32_e32 vcc_lo, s31, v15
	v_add_nc_u64_e32 v[18:19], 2, v[16:17]
	v_cndmask_b32_e32 v11, v22, v11, vcc_lo
	s_delay_alu instid0(VALU_DEP_4) | instskip(NEXT) | instid1(VALU_DEP_2)
	v_cmp_ne_u32_e32 vcc_lo, 0, v3
	v_cmp_ne_u32_e64 s0, 0, v11
	s_delay_alu instid0(VALU_DEP_4) | instskip(NEXT) | instid1(VALU_DEP_1)
	v_dual_cndmask_b32 v3, v21, v19, vcc_lo :: v_dual_cndmask_b32 v11, v20, v18, vcc_lo
	v_dual_cndmask_b32 v3, v17, v3, s0 :: v_dual_bitop2_b32 v12, s28, v12 bitop3:0x14
	s_delay_alu instid0(VALU_DEP_1) | instskip(NEXT) | instid1(VALU_DEP_1)
	v_dual_cndmask_b32 v11, v16, v11, s0 :: v_dual_bitop2_b32 v17, v3, v12 bitop3:0x14
	v_dual_mov_b32 v13, v12 :: v_dual_bitop2_b32 v16, v11, v12 bitop3:0x14
	s_delay_alu instid0(VALU_DEP_1)
	v_sub_nc_u64_e32 v[12:13], v[16:17], v[12:13]
.LBB26_13:                              ;   in Loop: Header=BB26_3 Depth=1
	s_and_not1_saveexec_b32 s0, s25
	s_cbranch_execz .LBB26_2
; %bb.14:                               ;   in Loop: Header=BB26_3 Depth=1
	v_cvt_f32_u32_e32 v3, s10
	s_sub_co_i32 s2, 0, s10
	s_delay_alu instid0(VALU_DEP_1) | instskip(SKIP_1) | instid1(TRANS32_DEP_1)
	v_rcp_iflag_f32_e32 v3, v3
	v_nop
	v_mul_f32_e32 v3, 0x4f7ffffe, v3
	s_delay_alu instid0(VALU_DEP_1) | instskip(NEXT) | instid1(VALU_DEP_1)
	v_cvt_u32_f32_e32 v3, v3
	v_mul_lo_u32 v11, s2, v3
	s_delay_alu instid0(VALU_DEP_1) | instskip(NEXT) | instid1(VALU_DEP_1)
	v_mul_hi_u32 v11, v3, v11
	v_add_nc_u32_e32 v3, v3, v11
	s_delay_alu instid0(VALU_DEP_1) | instskip(NEXT) | instid1(VALU_DEP_1)
	v_mul_hi_u32 v3, v10, v3
	v_mul_lo_u32 v11, v3, s10
	s_delay_alu instid0(VALU_DEP_1) | instskip(NEXT) | instid1(VALU_DEP_1)
	v_sub_nc_u32_e32 v11, v10, v11
	v_subrev_nc_u32_e32 v13, s10, v11
	v_cmp_le_u32_e32 vcc_lo, s10, v11
	s_delay_alu instid0(VALU_DEP_2) | instskip(NEXT) | instid1(VALU_DEP_1)
	v_dual_cndmask_b32 v11, v11, v13 :: v_dual_add_nc_u32 v12, 1, v3
	v_cndmask_b32_e32 v3, v3, v12, vcc_lo
	s_delay_alu instid0(VALU_DEP_2) | instskip(NEXT) | instid1(VALU_DEP_2)
	v_cmp_le_u32_e32 vcc_lo, s10, v11
	v_add_nc_u32_e32 v12, 1, v3
	s_delay_alu instid0(VALU_DEP_1)
	v_cndmask_b32_e32 v12, v3, v12, vcc_lo
	s_branch .LBB26_2
.LBB26_15:
	s_endpgm
	.section	.rodata,"a",@progbits
	.p2align	6, 0x0
	.amdhsa_kernel _ZN2at6native31max_unpooling2d_backward_kernelIN3c108BFloat16EEEvlPKT_PKllllllPS4_
		.amdhsa_group_segment_fixed_size 0
		.amdhsa_private_segment_fixed_size 0
		.amdhsa_kernarg_size 328
		.amdhsa_user_sgpr_count 2
		.amdhsa_user_sgpr_dispatch_ptr 0
		.amdhsa_user_sgpr_queue_ptr 0
		.amdhsa_user_sgpr_kernarg_segment_ptr 1
		.amdhsa_user_sgpr_dispatch_id 0
		.amdhsa_user_sgpr_kernarg_preload_length 0
		.amdhsa_user_sgpr_kernarg_preload_offset 0
		.amdhsa_user_sgpr_private_segment_size 0
		.amdhsa_wavefront_size32 1
		.amdhsa_uses_dynamic_stack 0
		.amdhsa_enable_private_segment 0
		.amdhsa_system_sgpr_workgroup_id_x 1
		.amdhsa_system_sgpr_workgroup_id_y 0
		.amdhsa_system_sgpr_workgroup_id_z 0
		.amdhsa_system_sgpr_workgroup_info 0
		.amdhsa_system_vgpr_workitem_id 0
		.amdhsa_next_free_vgpr 28
		.amdhsa_next_free_sgpr 42
		.amdhsa_named_barrier_count 0
		.amdhsa_reserve_vcc 1
		.amdhsa_float_round_mode_32 0
		.amdhsa_float_round_mode_16_64 0
		.amdhsa_float_denorm_mode_32 3
		.amdhsa_float_denorm_mode_16_64 3
		.amdhsa_fp16_overflow 0
		.amdhsa_memory_ordered 1
		.amdhsa_forward_progress 1
		.amdhsa_inst_pref_size 21
		.amdhsa_round_robin_scheduling 0
		.amdhsa_exception_fp_ieee_invalid_op 0
		.amdhsa_exception_fp_denorm_src 0
		.amdhsa_exception_fp_ieee_div_zero 0
		.amdhsa_exception_fp_ieee_overflow 0
		.amdhsa_exception_fp_ieee_underflow 0
		.amdhsa_exception_fp_ieee_inexact 0
		.amdhsa_exception_int_div_zero 0
	.end_amdhsa_kernel
	.section	.text._ZN2at6native31max_unpooling2d_backward_kernelIN3c108BFloat16EEEvlPKT_PKllllllPS4_,"axG",@progbits,_ZN2at6native31max_unpooling2d_backward_kernelIN3c108BFloat16EEEvlPKT_PKllllllPS4_,comdat
.Lfunc_end26:
	.size	_ZN2at6native31max_unpooling2d_backward_kernelIN3c108BFloat16EEEvlPKT_PKllllllPS4_, .Lfunc_end26-_ZN2at6native31max_unpooling2d_backward_kernelIN3c108BFloat16EEEvlPKT_PKllllllPS4_
                                        ; -- End function
	.set _ZN2at6native31max_unpooling2d_backward_kernelIN3c108BFloat16EEEvlPKT_PKllllllPS4_.num_vgpr, 28
	.set _ZN2at6native31max_unpooling2d_backward_kernelIN3c108BFloat16EEEvlPKT_PKllllllPS4_.num_agpr, 0
	.set _ZN2at6native31max_unpooling2d_backward_kernelIN3c108BFloat16EEEvlPKT_PKllllllPS4_.numbered_sgpr, 42
	.set _ZN2at6native31max_unpooling2d_backward_kernelIN3c108BFloat16EEEvlPKT_PKllllllPS4_.num_named_barrier, 0
	.set _ZN2at6native31max_unpooling2d_backward_kernelIN3c108BFloat16EEEvlPKT_PKllllllPS4_.private_seg_size, 0
	.set _ZN2at6native31max_unpooling2d_backward_kernelIN3c108BFloat16EEEvlPKT_PKllllllPS4_.uses_vcc, 1
	.set _ZN2at6native31max_unpooling2d_backward_kernelIN3c108BFloat16EEEvlPKT_PKllllllPS4_.uses_flat_scratch, 0
	.set _ZN2at6native31max_unpooling2d_backward_kernelIN3c108BFloat16EEEvlPKT_PKllllllPS4_.has_dyn_sized_stack, 0
	.set _ZN2at6native31max_unpooling2d_backward_kernelIN3c108BFloat16EEEvlPKT_PKllllllPS4_.has_recursion, 0
	.set _ZN2at6native31max_unpooling2d_backward_kernelIN3c108BFloat16EEEvlPKT_PKllllllPS4_.has_indirect_call, 0
	.section	.AMDGPU.csdata,"",@progbits
; Kernel info:
; codeLenInByte = 2600
; TotalNumSgprs: 44
; NumVgprs: 28
; ScratchSize: 0
; MemoryBound: 0
; FloatMode: 240
; IeeeMode: 1
; LDSByteSize: 0 bytes/workgroup (compile time only)
; SGPRBlocks: 0
; VGPRBlocks: 1
; NumSGPRsForWavesPerEU: 44
; NumVGPRsForWavesPerEU: 28
; NamedBarCnt: 0
; Occupancy: 16
; WaveLimiterHint : 1
; COMPUTE_PGM_RSRC2:SCRATCH_EN: 0
; COMPUTE_PGM_RSRC2:USER_SGPR: 2
; COMPUTE_PGM_RSRC2:TRAP_HANDLER: 0
; COMPUTE_PGM_RSRC2:TGID_X_EN: 1
; COMPUTE_PGM_RSRC2:TGID_Y_EN: 0
; COMPUTE_PGM_RSRC2:TGID_Z_EN: 0
; COMPUTE_PGM_RSRC2:TIDIG_COMP_CNT: 0
	.section	.text._ZN2at6native31max_unpooling3d_backward_kernelIhEEvPKT_lllN5torch10headeronly6detail27GenericPackedTensorAccessorINS7_14TensorAccessorIN3c108ArrayRefIlEElLm3ENS6_16DefaultPtrTraitsElEENS_6detail16IndexBoundsCheckILm4ElEElLm4ESD_lEENS8_INS9_ISC_S2_Lm3ESD_lEESH_S2_Lm4ESD_lEEi,"axG",@progbits,_ZN2at6native31max_unpooling3d_backward_kernelIhEEvPKT_lllN5torch10headeronly6detail27GenericPackedTensorAccessorINS7_14TensorAccessorIN3c108ArrayRefIlEElLm3ENS6_16DefaultPtrTraitsElEENS_6detail16IndexBoundsCheckILm4ElEElLm4ESD_lEENS8_INS9_ISC_S2_Lm3ESD_lEESH_S2_Lm4ESD_lEEi,comdat
	.protected	_ZN2at6native31max_unpooling3d_backward_kernelIhEEvPKT_lllN5torch10headeronly6detail27GenericPackedTensorAccessorINS7_14TensorAccessorIN3c108ArrayRefIlEElLm3ENS6_16DefaultPtrTraitsElEENS_6detail16IndexBoundsCheckILm4ElEElLm4ESD_lEENS8_INS9_ISC_S2_Lm3ESD_lEESH_S2_Lm4ESD_lEEi ; -- Begin function _ZN2at6native31max_unpooling3d_backward_kernelIhEEvPKT_lllN5torch10headeronly6detail27GenericPackedTensorAccessorINS7_14TensorAccessorIN3c108ArrayRefIlEElLm3ENS6_16DefaultPtrTraitsElEENS_6detail16IndexBoundsCheckILm4ElEElLm4ESD_lEENS8_INS9_ISC_S2_Lm3ESD_lEESH_S2_Lm4ESD_lEEi
	.globl	_ZN2at6native31max_unpooling3d_backward_kernelIhEEvPKT_lllN5torch10headeronly6detail27GenericPackedTensorAccessorINS7_14TensorAccessorIN3c108ArrayRefIlEElLm3ENS6_16DefaultPtrTraitsElEENS_6detail16IndexBoundsCheckILm4ElEElLm4ESD_lEENS8_INS9_ISC_S2_Lm3ESD_lEESH_S2_Lm4ESD_lEEi
	.p2align	8
	.type	_ZN2at6native31max_unpooling3d_backward_kernelIhEEvPKT_lllN5torch10headeronly6detail27GenericPackedTensorAccessorINS7_14TensorAccessorIN3c108ArrayRefIlEElLm3ENS6_16DefaultPtrTraitsElEENS_6detail16IndexBoundsCheckILm4ElEElLm4ESD_lEENS8_INS9_ISC_S2_Lm3ESD_lEESH_S2_Lm4ESD_lEEi,@function
_ZN2at6native31max_unpooling3d_backward_kernelIhEEvPKT_lllN5torch10headeronly6detail27GenericPackedTensorAccessorINS7_14TensorAccessorIN3c108ArrayRefIlEElLm3ENS6_16DefaultPtrTraitsElEENS_6detail16IndexBoundsCheckILm4ElEElLm4ESD_lEENS8_INS9_ISC_S2_Lm3ESD_lEESH_S2_Lm4ESD_lEEi: ; @_ZN2at6native31max_unpooling3d_backward_kernelIhEEvPKT_lllN5torch10headeronly6detail27GenericPackedTensorAccessorINS7_14TensorAccessorIN3c108ArrayRefIlEElLm3ENS6_16DefaultPtrTraitsElEENS_6detail16IndexBoundsCheckILm4ElEElLm4ESD_lEENS8_INS9_ISC_S2_Lm3ESD_lEESH_S2_Lm4ESD_lEEi
; %bb.0:
	v_mov_b32_e32 v1, 0
	s_bfe_u32 s5, ttmp6, 0x40014
	s_lshr_b32 s6, ttmp7, 16
	s_add_co_i32 s5, s5, 1
	s_bfe_u32 s7, ttmp6, 0x40008
	global_load_u16 v1, v1, s[0:1] offset:198
	s_clause 0x1
	s_load_b64 s[2:3], s[0:1], 0x78
	s_load_b32 s4, s[0:1], 0xb0
	s_mul_i32 s5, s6, s5
	s_getreg_b32 s10, hwreg(HW_REG_IB_STS2, 6, 4)
	s_add_co_i32 s7, s7, s5
	s_cmp_eq_u32 s10, 0
	s_cselect_b32 s5, s6, s7
	s_wait_kmcnt 0x0
	s_and_b64 s[6:7], s[2:3], 0xffffffff00000000
	s_add_co_i32 s4, s4, s5
	s_cmp_lg_u64 s[6:7], 0
	s_mov_b32 s5, 0
	s_cbranch_scc0 .LBB27_7
; %bb.1:
	s_ashr_i32 s6, s3, 31
	s_mov_b32 s17, s5
	s_mov_b32 s7, s6
	;; [unrolled: 1-line block ×3, first 2 shown]
	s_add_nc_u64 s[8:9], s[2:3], s[6:7]
	s_delay_alu instid0(SALU_CYCLE_1) | instskip(NEXT) | instid1(SALU_CYCLE_1)
	s_xor_b64 s[8:9], s[8:9], s[6:7]
	s_cvt_f32_u32 s3, s8
	s_cvt_f32_u32 s11, s9
	s_sub_nc_u64 s[14:15], 0, s[8:9]
	s_delay_alu instid0(SALU_CYCLE_2) | instskip(NEXT) | instid1(SALU_CYCLE_3)
	s_fmamk_f32 s3, s11, 0x4f800000, s3
	v_s_rcp_f32 s3, s3
	s_delay_alu instid0(TRANS32_DEP_1) | instskip(NEXT) | instid1(SALU_CYCLE_3)
	s_mul_f32 s3, s3, 0x5f7ffffc
	s_mul_f32 s11, s3, 0x2f800000
	s_delay_alu instid0(SALU_CYCLE_3) | instskip(NEXT) | instid1(SALU_CYCLE_3)
	s_trunc_f32 s11, s11
	s_fmamk_f32 s3, s11, 0xcf800000, s3
	s_cvt_u32_f32 s13, s11
	s_delay_alu instid0(SALU_CYCLE_2) | instskip(NEXT) | instid1(SALU_CYCLE_3)
	s_cvt_u32_f32 s12, s3
	s_mul_u64 s[18:19], s[14:15], s[12:13]
	s_delay_alu instid0(SALU_CYCLE_1)
	s_mul_hi_u32 s23, s12, s19
	s_mul_i32 s22, s12, s19
	s_mul_hi_u32 s16, s12, s18
	s_mul_i32 s11, s13, s18
	s_add_nc_u64 s[16:17], s[16:17], s[22:23]
	s_mul_hi_u32 s3, s13, s18
	s_mul_hi_u32 s24, s13, s19
	s_add_co_u32 s11, s16, s11
	s_add_co_ci_u32 s20, s17, s3
	s_mul_i32 s18, s13, s19
	s_add_co_ci_u32 s19, s24, 0
	s_delay_alu instid0(SALU_CYCLE_1) | instskip(SKIP_3) | instid1(SALU_CYCLE_1)
	s_add_nc_u64 s[16:17], s[20:21], s[18:19]
	s_mov_b32 s19, s5
	s_add_co_u32 s12, s12, s16
	s_cselect_b32 s3, -1, 0
	s_cmp_lg_u32 s3, 0
	s_add_co_ci_u32 s13, s13, s17
	s_mov_b32 s17, s5
	s_mul_u64 s[14:15], s[14:15], s[12:13]
	s_delay_alu instid0(SALU_CYCLE_1)
	s_mul_hi_u32 s21, s12, s15
	s_mul_i32 s20, s12, s15
	s_mul_hi_u32 s16, s12, s14
	s_mul_i32 s11, s13, s14
	s_add_nc_u64 s[16:17], s[16:17], s[20:21]
	s_mul_hi_u32 s3, s13, s14
	s_mul_hi_u32 s22, s13, s15
	s_add_co_u32 s11, s16, s11
	s_add_co_ci_u32 s18, s17, s3
	s_mul_i32 s14, s13, s15
	s_add_co_ci_u32 s15, s22, 0
	s_add_nc_u64 s[16:17], s[4:5], 0
	s_add_nc_u64 s[14:15], s[18:19], s[14:15]
	s_delay_alu instid0(SALU_CYCLE_1) | instskip(SKIP_1) | instid1(SALU_CYCLE_1)
	s_add_co_u32 s3, s12, s14
	s_cselect_b32 s11, -1, 0
	s_cmp_lg_u32 s11, 0
	s_add_co_ci_u32 s11, s13, s15
	s_xor_b64 s[12:13], s[16:17], 0
	s_mov_b32 s15, s5
	s_mul_hi_u32 s17, s12, s11
	s_mul_i32 s16, s12, s11
	s_mul_hi_u32 s18, s12, s3
	s_mul_hi_u32 s14, s13, s3
	s_mul_i32 s3, s13, s3
	s_add_nc_u64 s[16:17], s[18:19], s[16:17]
	s_mul_hi_u32 s20, s13, s11
	s_add_co_u32 s3, s16, s3
	s_add_co_ci_u32 s14, s17, s14
	s_mul_i32 s18, s13, s11
	s_add_co_ci_u32 s19, s20, 0
	s_delay_alu instid0(SALU_CYCLE_1) | instskip(NEXT) | instid1(SALU_CYCLE_1)
	s_add_nc_u64 s[14:15], s[14:15], s[18:19]
	s_and_b64 s[16:17], s[14:15], 0xffffffff00000000
	s_delay_alu instid0(SALU_CYCLE_1) | instskip(NEXT) | instid1(SALU_CYCLE_1)
	s_or_b32 s16, s16, s14
	s_mul_u64 s[14:15], s[8:9], s[16:17]
	s_delay_alu instid0(SALU_CYCLE_1)
	s_sub_co_u32 s3, s12, s14
	s_cselect_b32 s11, -1, 0
	s_sub_co_i32 s12, s13, s15
	s_cmp_lg_u32 s11, 0
	s_sub_co_ci_u32 s12, s12, s9
	s_sub_co_u32 s14, s3, s8
	s_cselect_b32 s18, -1, 0
	s_delay_alu instid0(SALU_CYCLE_1) | instskip(SKIP_2) | instid1(SALU_CYCLE_1)
	s_cmp_lg_u32 s18, 0
	s_add_nc_u64 s[18:19], s[16:17], 1
	s_sub_co_ci_u32 s12, s12, 0
	s_cmp_ge_u32 s12, s9
	s_cselect_b32 s20, -1, 0
	s_cmp_ge_u32 s14, s8
	s_cselect_b32 s14, -1, 0
	s_cmp_eq_u32 s12, s9
	s_cselect_b32 s12, s14, s20
	s_add_nc_u64 s[20:21], s[16:17], 2
	s_cmp_lg_u32 s12, 0
	s_cselect_b32 s12, s20, s18
	s_cselect_b32 s14, s21, s19
	s_cmp_lg_u32 s11, 0
	s_sub_co_ci_u32 s11, s13, s15
	s_delay_alu instid0(SALU_CYCLE_1)
	s_cmp_ge_u32 s11, s9
	s_cselect_b32 s13, -1, 0
	s_cmp_ge_u32 s3, s8
	s_cselect_b32 s3, -1, 0
	s_cmp_eq_u32 s11, s9
	s_cselect_b32 s3, s3, s13
	s_delay_alu instid0(SALU_CYCLE_1) | instskip(SKIP_3) | instid1(SALU_CYCLE_1)
	s_cmp_lg_u32 s3, 0
	s_cselect_b32 s9, s14, s17
	s_cselect_b32 s8, s12, s16
	s_xor_b64 s[6:7], 0, s[6:7]
	s_xor_b64 s[8:9], s[8:9], s[6:7]
	s_delay_alu instid0(SALU_CYCLE_1)
	s_sub_nc_u64 s[6:7], s[8:9], s[6:7]
	s_and_not1_b32 vcc_lo, exec_lo, s5
	s_cbranch_vccnz .LBB27_3
.LBB27_2:
	v_cvt_f32_u32_e32 v2, s2
	s_sub_co_i32 s5, 0, s2
	s_delay_alu instid0(VALU_DEP_1) | instskip(SKIP_1) | instid1(TRANS32_DEP_1)
	v_rcp_iflag_f32_e32 v2, v2
	v_nop
	v_mul_f32_e32 v2, 0x4f7ffffe, v2
	s_delay_alu instid0(VALU_DEP_1) | instskip(NEXT) | instid1(VALU_DEP_1)
	v_cvt_u32_f32_e32 v2, v2
	v_readfirstlane_b32 s3, v2
	s_mul_i32 s5, s5, s3
	s_delay_alu instid0(SALU_CYCLE_1) | instskip(NEXT) | instid1(SALU_CYCLE_1)
	s_mul_hi_u32 s5, s3, s5
	s_add_co_i32 s3, s3, s5
	s_delay_alu instid0(SALU_CYCLE_1) | instskip(NEXT) | instid1(SALU_CYCLE_1)
	s_mul_hi_u32 s3, s4, s3
	s_mul_i32 s5, s3, s2
	s_add_co_i32 s6, s3, 1
	s_sub_co_i32 s5, s4, s5
	s_delay_alu instid0(SALU_CYCLE_1)
	s_sub_co_i32 s7, s5, s2
	s_cmp_ge_u32 s5, s2
	s_cselect_b32 s3, s6, s3
	s_cselect_b32 s5, s7, s5
	s_add_co_i32 s6, s3, 1
	s_cmp_ge_u32 s5, s2
	s_mov_b32 s7, 0
	s_cselect_b32 s6, s6, s3
.LBB27_3:
	s_bfe_u32 s3, ttmp6, 0x40010
	s_and_b32 s5, ttmp7, 0xffff
	s_add_co_i32 s3, s3, 1
	s_bfe_u32 s8, ttmp6, 0x40004
	s_mul_i32 s3, s5, s3
	s_wait_loadcnt 0x0
	v_and_b32_e32 v1, 0xffff, v1
	s_add_co_i32 s3, s8, s3
	v_bfe_u32 v2, v0, 10, 10
	s_cmp_eq_u32 s10, 0
	s_load_b64 s[8:9], s[0:1], 0x80
	s_cselect_b32 s3, s5, s3
	s_delay_alu instid0(VALU_DEP_1) | instid1(SALU_CYCLE_1)
	v_mad_u32 v2, s3, v1, v2
	s_mov_b32 s3, exec_lo
	s_delay_alu instid0(VALU_DEP_1) | instskip(SKIP_1) | instid1(VALU_DEP_1)
	v_ashrrev_i32_e32 v3, 31, v2
	s_wait_kmcnt 0x0
	v_cmpx_gt_i64_e64 s[8:9], v[2:3]
	s_cbranch_execz .LBB27_6
; %bb.4:
	s_add_nc_u64 s[8:9], s[0:1], 0xb8
	s_bfe_u32 s5, ttmp6, 0x4000c
	s_load_b32 s3, s[8:9], 0xc
	s_add_co_i32 s5, s5, 1
	s_wait_xcnt 0x0
	s_and_b32 s8, ttmp6, 15
	s_mul_i32 s5, ttmp9, s5
	v_and_b32_e32 v0, 0x3ff, v0
	s_add_co_i32 s5, s8, s5
	s_load_b64 s[8:9], s[0:1], 0x88
	s_wait_kmcnt 0x0
	s_and_b32 s3, s3, 0xffff
	s_cmp_eq_u32 s10, 0
	s_cselect_b32 s5, ttmp9, s5
	s_delay_alu instid0(SALU_CYCLE_1) | instskip(NEXT) | instid1(VALU_DEP_1)
	v_mad_u32 v0, s5, s3, v0
	v_ashrrev_i32_e32 v1, 31, v0
	s_delay_alu instid0(VALU_DEP_1)
	v_cmp_gt_i64_e32 vcc_lo, s[8:9], v[0:1]
	s_and_b32 exec_lo, exec_lo, vcc_lo
	s_cbranch_execz .LBB27_6
; %bb.5:
	s_load_b256 s[8:15], s[0:1], 0x48
	s_mul_i32 s5, s6, s2
	s_bfe_i64 s[2:3], s[6:7], 0x200000
	s_wait_kmcnt 0x0
	v_mul_u64_e32 v[4:5], s[12:13], v[2:3]
	v_mul_u64_e32 v[6:7], s[14:15], v[0:1]
	s_load_b64 s[12:13], s[0:1], 0x20
	s_sub_co_i32 s14, s4, s5
	s_mul_u64 s[4:5], s[8:9], s[2:3]
	s_ashr_i32 s15, s14, 31
	s_lshl_b64 s[4:5], s[4:5], 3
	s_mul_u64 s[6:7], s[10:11], s[14:15]
	s_delay_alu instid0(SALU_CYCLE_1) | instskip(SKIP_2) | instid1(SALU_CYCLE_1)
	s_lshl_b64 s[6:7], s[6:7], 3
	s_wait_kmcnt 0x0
	s_add_nc_u64 s[4:5], s[12:13], s[4:5]
	s_add_nc_u64 s[4:5], s[4:5], s[6:7]
	s_delay_alu instid0(VALU_DEP_2) | instid1(SALU_CYCLE_1)
	v_lshl_add_u64 v[4:5], v[4:5], 3, s[4:5]
	s_load_b256 s[4:11], s[0:1], 0x0
	s_delay_alu instid0(VALU_DEP_1) | instskip(SKIP_3) | instid1(SALU_CYCLE_1)
	v_lshl_add_u64 v[4:5], v[6:7], 3, v[4:5]
	global_load_b64 v[4:5], v[4:5], off
	s_wait_kmcnt 0x0
	s_mul_u64 s[6:7], s[8:9], s[6:7]
	s_mul_u64 s[6:7], s[6:7], s[10:11]
	s_delay_alu instid0(SALU_CYCLE_1) | instskip(NEXT) | instid1(SALU_CYCLE_1)
	s_mul_u64 s[6:7], s[6:7], s[2:3]
	s_add_nc_u64 s[4:5], s[4:5], s[6:7]
	s_wait_loadcnt 0x0
	v_add_nc_u64_e32 v[4:5], s[4:5], v[4:5]
	global_load_u8 v6, v[4:5], off
	s_clause 0x1
	s_load_b256 s[4:11], s[0:1], 0x90
	s_load_b64 s[12:13], s[0:1], 0x68
	s_wait_kmcnt 0x0
	s_mul_u64 s[0:1], s[4:5], s[2:3]
	s_mul_u64 s[2:3], s[6:7], s[14:15]
	s_add_nc_u64 s[0:1], s[12:13], s[0:1]
	s_delay_alu instid0(SALU_CYCLE_1) | instskip(NEXT) | instid1(SALU_CYCLE_1)
	s_add_nc_u64 s[0:1], s[0:1], s[2:3]
	v_mad_nc_u64_u32 v[4:5], s8, v2, s[0:1]
	s_delay_alu instid0(VALU_DEP_1) | instskip(NEXT) | instid1(VALU_DEP_1)
	v_mad_u32 v2, s9, v2, v5
	v_mad_u32 v5, s8, v3, v2
	s_delay_alu instid0(VALU_DEP_1) | instskip(NEXT) | instid1(VALU_DEP_1)
	v_mad_nc_u64_u32 v[2:3], s10, v0, v[4:5]
	v_mad_u32 v0, s11, v0, v3
	s_delay_alu instid0(VALU_DEP_1)
	v_mad_u32 v3, s10, v1, v0
	s_wait_loadcnt 0x0
	global_store_b8 v[2:3], v6, off
.LBB27_6:
	s_endpgm
.LBB27_7:
                                        ; implicit-def: $sgpr6_sgpr7
	s_branch .LBB27_2
	.section	.rodata,"a",@progbits
	.p2align	6, 0x0
	.amdhsa_kernel _ZN2at6native31max_unpooling3d_backward_kernelIhEEvPKT_lllN5torch10headeronly6detail27GenericPackedTensorAccessorINS7_14TensorAccessorIN3c108ArrayRefIlEElLm3ENS6_16DefaultPtrTraitsElEENS_6detail16IndexBoundsCheckILm4ElEElLm4ESD_lEENS8_INS9_ISC_S2_Lm3ESD_lEESH_S2_Lm4ESD_lEEi
		.amdhsa_group_segment_fixed_size 0
		.amdhsa_private_segment_fixed_size 0
		.amdhsa_kernarg_size 440
		.amdhsa_user_sgpr_count 2
		.amdhsa_user_sgpr_dispatch_ptr 0
		.amdhsa_user_sgpr_queue_ptr 0
		.amdhsa_user_sgpr_kernarg_segment_ptr 1
		.amdhsa_user_sgpr_dispatch_id 0
		.amdhsa_user_sgpr_kernarg_preload_length 0
		.amdhsa_user_sgpr_kernarg_preload_offset 0
		.amdhsa_user_sgpr_private_segment_size 0
		.amdhsa_wavefront_size32 1
		.amdhsa_uses_dynamic_stack 0
		.amdhsa_enable_private_segment 0
		.amdhsa_system_sgpr_workgroup_id_x 1
		.amdhsa_system_sgpr_workgroup_id_y 1
		.amdhsa_system_sgpr_workgroup_id_z 1
		.amdhsa_system_sgpr_workgroup_info 0
		.amdhsa_system_vgpr_workitem_id 1
		.amdhsa_next_free_vgpr 8
		.amdhsa_next_free_sgpr 25
		.amdhsa_named_barrier_count 0
		.amdhsa_reserve_vcc 1
		.amdhsa_float_round_mode_32 0
		.amdhsa_float_round_mode_16_64 0
		.amdhsa_float_denorm_mode_32 3
		.amdhsa_float_denorm_mode_16_64 3
		.amdhsa_fp16_overflow 0
		.amdhsa_memory_ordered 1
		.amdhsa_forward_progress 1
		.amdhsa_inst_pref_size 10
		.amdhsa_round_robin_scheduling 0
		.amdhsa_exception_fp_ieee_invalid_op 0
		.amdhsa_exception_fp_denorm_src 0
		.amdhsa_exception_fp_ieee_div_zero 0
		.amdhsa_exception_fp_ieee_overflow 0
		.amdhsa_exception_fp_ieee_underflow 0
		.amdhsa_exception_fp_ieee_inexact 0
		.amdhsa_exception_int_div_zero 0
	.end_amdhsa_kernel
	.section	.text._ZN2at6native31max_unpooling3d_backward_kernelIhEEvPKT_lllN5torch10headeronly6detail27GenericPackedTensorAccessorINS7_14TensorAccessorIN3c108ArrayRefIlEElLm3ENS6_16DefaultPtrTraitsElEENS_6detail16IndexBoundsCheckILm4ElEElLm4ESD_lEENS8_INS9_ISC_S2_Lm3ESD_lEESH_S2_Lm4ESD_lEEi,"axG",@progbits,_ZN2at6native31max_unpooling3d_backward_kernelIhEEvPKT_lllN5torch10headeronly6detail27GenericPackedTensorAccessorINS7_14TensorAccessorIN3c108ArrayRefIlEElLm3ENS6_16DefaultPtrTraitsElEENS_6detail16IndexBoundsCheckILm4ElEElLm4ESD_lEENS8_INS9_ISC_S2_Lm3ESD_lEESH_S2_Lm4ESD_lEEi,comdat
.Lfunc_end27:
	.size	_ZN2at6native31max_unpooling3d_backward_kernelIhEEvPKT_lllN5torch10headeronly6detail27GenericPackedTensorAccessorINS7_14TensorAccessorIN3c108ArrayRefIlEElLm3ENS6_16DefaultPtrTraitsElEENS_6detail16IndexBoundsCheckILm4ElEElLm4ESD_lEENS8_INS9_ISC_S2_Lm3ESD_lEESH_S2_Lm4ESD_lEEi, .Lfunc_end27-_ZN2at6native31max_unpooling3d_backward_kernelIhEEvPKT_lllN5torch10headeronly6detail27GenericPackedTensorAccessorINS7_14TensorAccessorIN3c108ArrayRefIlEElLm3ENS6_16DefaultPtrTraitsElEENS_6detail16IndexBoundsCheckILm4ElEElLm4ESD_lEENS8_INS9_ISC_S2_Lm3ESD_lEESH_S2_Lm4ESD_lEEi
                                        ; -- End function
	.set _ZN2at6native31max_unpooling3d_backward_kernelIhEEvPKT_lllN5torch10headeronly6detail27GenericPackedTensorAccessorINS7_14TensorAccessorIN3c108ArrayRefIlEElLm3ENS6_16DefaultPtrTraitsElEENS_6detail16IndexBoundsCheckILm4ElEElLm4ESD_lEENS8_INS9_ISC_S2_Lm3ESD_lEESH_S2_Lm4ESD_lEEi.num_vgpr, 8
	.set _ZN2at6native31max_unpooling3d_backward_kernelIhEEvPKT_lllN5torch10headeronly6detail27GenericPackedTensorAccessorINS7_14TensorAccessorIN3c108ArrayRefIlEElLm3ENS6_16DefaultPtrTraitsElEENS_6detail16IndexBoundsCheckILm4ElEElLm4ESD_lEENS8_INS9_ISC_S2_Lm3ESD_lEESH_S2_Lm4ESD_lEEi.num_agpr, 0
	.set _ZN2at6native31max_unpooling3d_backward_kernelIhEEvPKT_lllN5torch10headeronly6detail27GenericPackedTensorAccessorINS7_14TensorAccessorIN3c108ArrayRefIlEElLm3ENS6_16DefaultPtrTraitsElEENS_6detail16IndexBoundsCheckILm4ElEElLm4ESD_lEENS8_INS9_ISC_S2_Lm3ESD_lEESH_S2_Lm4ESD_lEEi.numbered_sgpr, 25
	.set _ZN2at6native31max_unpooling3d_backward_kernelIhEEvPKT_lllN5torch10headeronly6detail27GenericPackedTensorAccessorINS7_14TensorAccessorIN3c108ArrayRefIlEElLm3ENS6_16DefaultPtrTraitsElEENS_6detail16IndexBoundsCheckILm4ElEElLm4ESD_lEENS8_INS9_ISC_S2_Lm3ESD_lEESH_S2_Lm4ESD_lEEi.num_named_barrier, 0
	.set _ZN2at6native31max_unpooling3d_backward_kernelIhEEvPKT_lllN5torch10headeronly6detail27GenericPackedTensorAccessorINS7_14TensorAccessorIN3c108ArrayRefIlEElLm3ENS6_16DefaultPtrTraitsElEENS_6detail16IndexBoundsCheckILm4ElEElLm4ESD_lEENS8_INS9_ISC_S2_Lm3ESD_lEESH_S2_Lm4ESD_lEEi.private_seg_size, 0
	.set _ZN2at6native31max_unpooling3d_backward_kernelIhEEvPKT_lllN5torch10headeronly6detail27GenericPackedTensorAccessorINS7_14TensorAccessorIN3c108ArrayRefIlEElLm3ENS6_16DefaultPtrTraitsElEENS_6detail16IndexBoundsCheckILm4ElEElLm4ESD_lEENS8_INS9_ISC_S2_Lm3ESD_lEESH_S2_Lm4ESD_lEEi.uses_vcc, 1
	.set _ZN2at6native31max_unpooling3d_backward_kernelIhEEvPKT_lllN5torch10headeronly6detail27GenericPackedTensorAccessorINS7_14TensorAccessorIN3c108ArrayRefIlEElLm3ENS6_16DefaultPtrTraitsElEENS_6detail16IndexBoundsCheckILm4ElEElLm4ESD_lEENS8_INS9_ISC_S2_Lm3ESD_lEESH_S2_Lm4ESD_lEEi.uses_flat_scratch, 0
	.set _ZN2at6native31max_unpooling3d_backward_kernelIhEEvPKT_lllN5torch10headeronly6detail27GenericPackedTensorAccessorINS7_14TensorAccessorIN3c108ArrayRefIlEElLm3ENS6_16DefaultPtrTraitsElEENS_6detail16IndexBoundsCheckILm4ElEElLm4ESD_lEENS8_INS9_ISC_S2_Lm3ESD_lEESH_S2_Lm4ESD_lEEi.has_dyn_sized_stack, 0
	.set _ZN2at6native31max_unpooling3d_backward_kernelIhEEvPKT_lllN5torch10headeronly6detail27GenericPackedTensorAccessorINS7_14TensorAccessorIN3c108ArrayRefIlEElLm3ENS6_16DefaultPtrTraitsElEENS_6detail16IndexBoundsCheckILm4ElEElLm4ESD_lEENS8_INS9_ISC_S2_Lm3ESD_lEESH_S2_Lm4ESD_lEEi.has_recursion, 0
	.set _ZN2at6native31max_unpooling3d_backward_kernelIhEEvPKT_lllN5torch10headeronly6detail27GenericPackedTensorAccessorINS7_14TensorAccessorIN3c108ArrayRefIlEElLm3ENS6_16DefaultPtrTraitsElEENS_6detail16IndexBoundsCheckILm4ElEElLm4ESD_lEENS8_INS9_ISC_S2_Lm3ESD_lEESH_S2_Lm4ESD_lEEi.has_indirect_call, 0
	.section	.AMDGPU.csdata,"",@progbits
; Kernel info:
; codeLenInByte = 1264
; TotalNumSgprs: 27
; NumVgprs: 8
; ScratchSize: 0
; MemoryBound: 0
; FloatMode: 240
; IeeeMode: 1
; LDSByteSize: 0 bytes/workgroup (compile time only)
; SGPRBlocks: 0
; VGPRBlocks: 0
; NumSGPRsForWavesPerEU: 27
; NumVGPRsForWavesPerEU: 8
; NamedBarCnt: 0
; Occupancy: 16
; WaveLimiterHint : 1
; COMPUTE_PGM_RSRC2:SCRATCH_EN: 0
; COMPUTE_PGM_RSRC2:USER_SGPR: 2
; COMPUTE_PGM_RSRC2:TRAP_HANDLER: 0
; COMPUTE_PGM_RSRC2:TGID_X_EN: 1
; COMPUTE_PGM_RSRC2:TGID_Y_EN: 1
; COMPUTE_PGM_RSRC2:TGID_Z_EN: 1
; COMPUTE_PGM_RSRC2:TIDIG_COMP_CNT: 1
	.section	.text._ZN2at6native31max_unpooling3d_backward_kernelIaEEvPKT_lllN5torch10headeronly6detail27GenericPackedTensorAccessorINS7_14TensorAccessorIN3c108ArrayRefIlEElLm3ENS6_16DefaultPtrTraitsElEENS_6detail16IndexBoundsCheckILm4ElEElLm4ESD_lEENS8_INS9_ISC_S2_Lm3ESD_lEESH_S2_Lm4ESD_lEEi,"axG",@progbits,_ZN2at6native31max_unpooling3d_backward_kernelIaEEvPKT_lllN5torch10headeronly6detail27GenericPackedTensorAccessorINS7_14TensorAccessorIN3c108ArrayRefIlEElLm3ENS6_16DefaultPtrTraitsElEENS_6detail16IndexBoundsCheckILm4ElEElLm4ESD_lEENS8_INS9_ISC_S2_Lm3ESD_lEESH_S2_Lm4ESD_lEEi,comdat
	.protected	_ZN2at6native31max_unpooling3d_backward_kernelIaEEvPKT_lllN5torch10headeronly6detail27GenericPackedTensorAccessorINS7_14TensorAccessorIN3c108ArrayRefIlEElLm3ENS6_16DefaultPtrTraitsElEENS_6detail16IndexBoundsCheckILm4ElEElLm4ESD_lEENS8_INS9_ISC_S2_Lm3ESD_lEESH_S2_Lm4ESD_lEEi ; -- Begin function _ZN2at6native31max_unpooling3d_backward_kernelIaEEvPKT_lllN5torch10headeronly6detail27GenericPackedTensorAccessorINS7_14TensorAccessorIN3c108ArrayRefIlEElLm3ENS6_16DefaultPtrTraitsElEENS_6detail16IndexBoundsCheckILm4ElEElLm4ESD_lEENS8_INS9_ISC_S2_Lm3ESD_lEESH_S2_Lm4ESD_lEEi
	.globl	_ZN2at6native31max_unpooling3d_backward_kernelIaEEvPKT_lllN5torch10headeronly6detail27GenericPackedTensorAccessorINS7_14TensorAccessorIN3c108ArrayRefIlEElLm3ENS6_16DefaultPtrTraitsElEENS_6detail16IndexBoundsCheckILm4ElEElLm4ESD_lEENS8_INS9_ISC_S2_Lm3ESD_lEESH_S2_Lm4ESD_lEEi
	.p2align	8
	.type	_ZN2at6native31max_unpooling3d_backward_kernelIaEEvPKT_lllN5torch10headeronly6detail27GenericPackedTensorAccessorINS7_14TensorAccessorIN3c108ArrayRefIlEElLm3ENS6_16DefaultPtrTraitsElEENS_6detail16IndexBoundsCheckILm4ElEElLm4ESD_lEENS8_INS9_ISC_S2_Lm3ESD_lEESH_S2_Lm4ESD_lEEi,@function
_ZN2at6native31max_unpooling3d_backward_kernelIaEEvPKT_lllN5torch10headeronly6detail27GenericPackedTensorAccessorINS7_14TensorAccessorIN3c108ArrayRefIlEElLm3ENS6_16DefaultPtrTraitsElEENS_6detail16IndexBoundsCheckILm4ElEElLm4ESD_lEENS8_INS9_ISC_S2_Lm3ESD_lEESH_S2_Lm4ESD_lEEi: ; @_ZN2at6native31max_unpooling3d_backward_kernelIaEEvPKT_lllN5torch10headeronly6detail27GenericPackedTensorAccessorINS7_14TensorAccessorIN3c108ArrayRefIlEElLm3ENS6_16DefaultPtrTraitsElEENS_6detail16IndexBoundsCheckILm4ElEElLm4ESD_lEENS8_INS9_ISC_S2_Lm3ESD_lEESH_S2_Lm4ESD_lEEi
; %bb.0:
	v_mov_b32_e32 v1, 0
	s_bfe_u32 s5, ttmp6, 0x40014
	s_lshr_b32 s6, ttmp7, 16
	s_add_co_i32 s5, s5, 1
	s_bfe_u32 s7, ttmp6, 0x40008
	global_load_u16 v1, v1, s[0:1] offset:198
	s_clause 0x1
	s_load_b64 s[2:3], s[0:1], 0x78
	s_load_b32 s4, s[0:1], 0xb0
	s_mul_i32 s5, s6, s5
	s_getreg_b32 s10, hwreg(HW_REG_IB_STS2, 6, 4)
	s_add_co_i32 s7, s7, s5
	s_cmp_eq_u32 s10, 0
	s_cselect_b32 s5, s6, s7
	s_wait_kmcnt 0x0
	s_and_b64 s[6:7], s[2:3], 0xffffffff00000000
	s_add_co_i32 s4, s4, s5
	s_cmp_lg_u64 s[6:7], 0
	s_mov_b32 s5, 0
	s_cbranch_scc0 .LBB28_7
; %bb.1:
	s_ashr_i32 s6, s3, 31
	s_mov_b32 s17, s5
	s_mov_b32 s7, s6
	;; [unrolled: 1-line block ×3, first 2 shown]
	s_add_nc_u64 s[8:9], s[2:3], s[6:7]
	s_delay_alu instid0(SALU_CYCLE_1) | instskip(NEXT) | instid1(SALU_CYCLE_1)
	s_xor_b64 s[8:9], s[8:9], s[6:7]
	s_cvt_f32_u32 s3, s8
	s_cvt_f32_u32 s11, s9
	s_sub_nc_u64 s[14:15], 0, s[8:9]
	s_delay_alu instid0(SALU_CYCLE_2) | instskip(NEXT) | instid1(SALU_CYCLE_3)
	s_fmamk_f32 s3, s11, 0x4f800000, s3
	v_s_rcp_f32 s3, s3
	s_delay_alu instid0(TRANS32_DEP_1) | instskip(NEXT) | instid1(SALU_CYCLE_3)
	s_mul_f32 s3, s3, 0x5f7ffffc
	s_mul_f32 s11, s3, 0x2f800000
	s_delay_alu instid0(SALU_CYCLE_3) | instskip(NEXT) | instid1(SALU_CYCLE_3)
	s_trunc_f32 s11, s11
	s_fmamk_f32 s3, s11, 0xcf800000, s3
	s_cvt_u32_f32 s13, s11
	s_delay_alu instid0(SALU_CYCLE_2) | instskip(NEXT) | instid1(SALU_CYCLE_3)
	s_cvt_u32_f32 s12, s3
	s_mul_u64 s[18:19], s[14:15], s[12:13]
	s_delay_alu instid0(SALU_CYCLE_1)
	s_mul_hi_u32 s23, s12, s19
	s_mul_i32 s22, s12, s19
	s_mul_hi_u32 s16, s12, s18
	s_mul_i32 s11, s13, s18
	s_add_nc_u64 s[16:17], s[16:17], s[22:23]
	s_mul_hi_u32 s3, s13, s18
	s_mul_hi_u32 s24, s13, s19
	s_add_co_u32 s11, s16, s11
	s_add_co_ci_u32 s20, s17, s3
	s_mul_i32 s18, s13, s19
	s_add_co_ci_u32 s19, s24, 0
	s_delay_alu instid0(SALU_CYCLE_1) | instskip(SKIP_3) | instid1(SALU_CYCLE_1)
	s_add_nc_u64 s[16:17], s[20:21], s[18:19]
	s_mov_b32 s19, s5
	s_add_co_u32 s12, s12, s16
	s_cselect_b32 s3, -1, 0
	s_cmp_lg_u32 s3, 0
	s_add_co_ci_u32 s13, s13, s17
	s_mov_b32 s17, s5
	s_mul_u64 s[14:15], s[14:15], s[12:13]
	s_delay_alu instid0(SALU_CYCLE_1)
	s_mul_hi_u32 s21, s12, s15
	s_mul_i32 s20, s12, s15
	s_mul_hi_u32 s16, s12, s14
	s_mul_i32 s11, s13, s14
	s_add_nc_u64 s[16:17], s[16:17], s[20:21]
	s_mul_hi_u32 s3, s13, s14
	s_mul_hi_u32 s22, s13, s15
	s_add_co_u32 s11, s16, s11
	s_add_co_ci_u32 s18, s17, s3
	s_mul_i32 s14, s13, s15
	s_add_co_ci_u32 s15, s22, 0
	s_add_nc_u64 s[16:17], s[4:5], 0
	s_add_nc_u64 s[14:15], s[18:19], s[14:15]
	s_delay_alu instid0(SALU_CYCLE_1) | instskip(SKIP_1) | instid1(SALU_CYCLE_1)
	s_add_co_u32 s3, s12, s14
	s_cselect_b32 s11, -1, 0
	s_cmp_lg_u32 s11, 0
	s_add_co_ci_u32 s11, s13, s15
	s_xor_b64 s[12:13], s[16:17], 0
	s_mov_b32 s15, s5
	s_mul_hi_u32 s17, s12, s11
	s_mul_i32 s16, s12, s11
	s_mul_hi_u32 s18, s12, s3
	s_mul_hi_u32 s14, s13, s3
	s_mul_i32 s3, s13, s3
	s_add_nc_u64 s[16:17], s[18:19], s[16:17]
	s_mul_hi_u32 s20, s13, s11
	s_add_co_u32 s3, s16, s3
	s_add_co_ci_u32 s14, s17, s14
	s_mul_i32 s18, s13, s11
	s_add_co_ci_u32 s19, s20, 0
	s_delay_alu instid0(SALU_CYCLE_1) | instskip(NEXT) | instid1(SALU_CYCLE_1)
	s_add_nc_u64 s[14:15], s[14:15], s[18:19]
	s_and_b64 s[16:17], s[14:15], 0xffffffff00000000
	s_delay_alu instid0(SALU_CYCLE_1) | instskip(NEXT) | instid1(SALU_CYCLE_1)
	s_or_b32 s16, s16, s14
	s_mul_u64 s[14:15], s[8:9], s[16:17]
	s_delay_alu instid0(SALU_CYCLE_1)
	s_sub_co_u32 s3, s12, s14
	s_cselect_b32 s11, -1, 0
	s_sub_co_i32 s12, s13, s15
	s_cmp_lg_u32 s11, 0
	s_sub_co_ci_u32 s12, s12, s9
	s_sub_co_u32 s14, s3, s8
	s_cselect_b32 s18, -1, 0
	s_delay_alu instid0(SALU_CYCLE_1) | instskip(SKIP_2) | instid1(SALU_CYCLE_1)
	s_cmp_lg_u32 s18, 0
	s_add_nc_u64 s[18:19], s[16:17], 1
	s_sub_co_ci_u32 s12, s12, 0
	s_cmp_ge_u32 s12, s9
	s_cselect_b32 s20, -1, 0
	s_cmp_ge_u32 s14, s8
	s_cselect_b32 s14, -1, 0
	s_cmp_eq_u32 s12, s9
	s_cselect_b32 s12, s14, s20
	s_add_nc_u64 s[20:21], s[16:17], 2
	s_cmp_lg_u32 s12, 0
	s_cselect_b32 s12, s20, s18
	s_cselect_b32 s14, s21, s19
	s_cmp_lg_u32 s11, 0
	s_sub_co_ci_u32 s11, s13, s15
	s_delay_alu instid0(SALU_CYCLE_1)
	s_cmp_ge_u32 s11, s9
	s_cselect_b32 s13, -1, 0
	s_cmp_ge_u32 s3, s8
	s_cselect_b32 s3, -1, 0
	s_cmp_eq_u32 s11, s9
	s_cselect_b32 s3, s3, s13
	s_delay_alu instid0(SALU_CYCLE_1) | instskip(SKIP_3) | instid1(SALU_CYCLE_1)
	s_cmp_lg_u32 s3, 0
	s_cselect_b32 s9, s14, s17
	s_cselect_b32 s8, s12, s16
	s_xor_b64 s[6:7], 0, s[6:7]
	s_xor_b64 s[8:9], s[8:9], s[6:7]
	s_delay_alu instid0(SALU_CYCLE_1)
	s_sub_nc_u64 s[6:7], s[8:9], s[6:7]
	s_and_not1_b32 vcc_lo, exec_lo, s5
	s_cbranch_vccnz .LBB28_3
.LBB28_2:
	v_cvt_f32_u32_e32 v2, s2
	s_sub_co_i32 s5, 0, s2
	s_delay_alu instid0(VALU_DEP_1) | instskip(SKIP_1) | instid1(TRANS32_DEP_1)
	v_rcp_iflag_f32_e32 v2, v2
	v_nop
	v_mul_f32_e32 v2, 0x4f7ffffe, v2
	s_delay_alu instid0(VALU_DEP_1) | instskip(NEXT) | instid1(VALU_DEP_1)
	v_cvt_u32_f32_e32 v2, v2
	v_readfirstlane_b32 s3, v2
	s_mul_i32 s5, s5, s3
	s_delay_alu instid0(SALU_CYCLE_1) | instskip(NEXT) | instid1(SALU_CYCLE_1)
	s_mul_hi_u32 s5, s3, s5
	s_add_co_i32 s3, s3, s5
	s_delay_alu instid0(SALU_CYCLE_1) | instskip(NEXT) | instid1(SALU_CYCLE_1)
	s_mul_hi_u32 s3, s4, s3
	s_mul_i32 s5, s3, s2
	s_add_co_i32 s6, s3, 1
	s_sub_co_i32 s5, s4, s5
	s_delay_alu instid0(SALU_CYCLE_1)
	s_sub_co_i32 s7, s5, s2
	s_cmp_ge_u32 s5, s2
	s_cselect_b32 s3, s6, s3
	s_cselect_b32 s5, s7, s5
	s_add_co_i32 s6, s3, 1
	s_cmp_ge_u32 s5, s2
	s_mov_b32 s7, 0
	s_cselect_b32 s6, s6, s3
.LBB28_3:
	s_bfe_u32 s3, ttmp6, 0x40010
	s_and_b32 s5, ttmp7, 0xffff
	s_add_co_i32 s3, s3, 1
	s_bfe_u32 s8, ttmp6, 0x40004
	s_mul_i32 s3, s5, s3
	s_wait_loadcnt 0x0
	v_and_b32_e32 v1, 0xffff, v1
	s_add_co_i32 s3, s8, s3
	v_bfe_u32 v2, v0, 10, 10
	s_cmp_eq_u32 s10, 0
	s_load_b64 s[8:9], s[0:1], 0x80
	s_cselect_b32 s3, s5, s3
	s_delay_alu instid0(VALU_DEP_1) | instid1(SALU_CYCLE_1)
	v_mad_u32 v2, s3, v1, v2
	s_mov_b32 s3, exec_lo
	s_delay_alu instid0(VALU_DEP_1) | instskip(SKIP_1) | instid1(VALU_DEP_1)
	v_ashrrev_i32_e32 v3, 31, v2
	s_wait_kmcnt 0x0
	v_cmpx_gt_i64_e64 s[8:9], v[2:3]
	s_cbranch_execz .LBB28_6
; %bb.4:
	s_add_nc_u64 s[8:9], s[0:1], 0xb8
	s_bfe_u32 s5, ttmp6, 0x4000c
	s_load_b32 s3, s[8:9], 0xc
	s_add_co_i32 s5, s5, 1
	s_wait_xcnt 0x0
	s_and_b32 s8, ttmp6, 15
	s_mul_i32 s5, ttmp9, s5
	v_and_b32_e32 v0, 0x3ff, v0
	s_add_co_i32 s5, s8, s5
	s_load_b64 s[8:9], s[0:1], 0x88
	s_wait_kmcnt 0x0
	s_and_b32 s3, s3, 0xffff
	s_cmp_eq_u32 s10, 0
	s_cselect_b32 s5, ttmp9, s5
	s_delay_alu instid0(SALU_CYCLE_1) | instskip(NEXT) | instid1(VALU_DEP_1)
	v_mad_u32 v0, s5, s3, v0
	v_ashrrev_i32_e32 v1, 31, v0
	s_delay_alu instid0(VALU_DEP_1)
	v_cmp_gt_i64_e32 vcc_lo, s[8:9], v[0:1]
	s_and_b32 exec_lo, exec_lo, vcc_lo
	s_cbranch_execz .LBB28_6
; %bb.5:
	s_load_b256 s[8:15], s[0:1], 0x48
	s_mul_i32 s5, s6, s2
	s_bfe_i64 s[2:3], s[6:7], 0x200000
	s_wait_kmcnt 0x0
	v_mul_u64_e32 v[4:5], s[12:13], v[2:3]
	v_mul_u64_e32 v[6:7], s[14:15], v[0:1]
	s_load_b64 s[12:13], s[0:1], 0x20
	s_sub_co_i32 s14, s4, s5
	s_mul_u64 s[4:5], s[8:9], s[2:3]
	s_ashr_i32 s15, s14, 31
	s_lshl_b64 s[4:5], s[4:5], 3
	s_mul_u64 s[6:7], s[10:11], s[14:15]
	s_delay_alu instid0(SALU_CYCLE_1) | instskip(SKIP_2) | instid1(SALU_CYCLE_1)
	s_lshl_b64 s[6:7], s[6:7], 3
	s_wait_kmcnt 0x0
	s_add_nc_u64 s[4:5], s[12:13], s[4:5]
	s_add_nc_u64 s[4:5], s[4:5], s[6:7]
	s_delay_alu instid0(VALU_DEP_2) | instid1(SALU_CYCLE_1)
	v_lshl_add_u64 v[4:5], v[4:5], 3, s[4:5]
	s_load_b256 s[4:11], s[0:1], 0x0
	s_delay_alu instid0(VALU_DEP_1) | instskip(SKIP_3) | instid1(SALU_CYCLE_1)
	v_lshl_add_u64 v[4:5], v[6:7], 3, v[4:5]
	global_load_b64 v[4:5], v[4:5], off
	s_wait_kmcnt 0x0
	s_mul_u64 s[6:7], s[8:9], s[6:7]
	s_mul_u64 s[6:7], s[6:7], s[10:11]
	s_delay_alu instid0(SALU_CYCLE_1) | instskip(NEXT) | instid1(SALU_CYCLE_1)
	s_mul_u64 s[6:7], s[6:7], s[2:3]
	s_add_nc_u64 s[4:5], s[4:5], s[6:7]
	s_wait_loadcnt 0x0
	v_add_nc_u64_e32 v[4:5], s[4:5], v[4:5]
	global_load_u8 v6, v[4:5], off
	s_clause 0x1
	s_load_b256 s[4:11], s[0:1], 0x90
	s_load_b64 s[12:13], s[0:1], 0x68
	s_wait_kmcnt 0x0
	s_mul_u64 s[0:1], s[4:5], s[2:3]
	s_mul_u64 s[2:3], s[6:7], s[14:15]
	s_add_nc_u64 s[0:1], s[12:13], s[0:1]
	s_delay_alu instid0(SALU_CYCLE_1) | instskip(NEXT) | instid1(SALU_CYCLE_1)
	s_add_nc_u64 s[0:1], s[0:1], s[2:3]
	v_mad_nc_u64_u32 v[4:5], s8, v2, s[0:1]
	s_delay_alu instid0(VALU_DEP_1) | instskip(NEXT) | instid1(VALU_DEP_1)
	v_mad_u32 v2, s9, v2, v5
	v_mad_u32 v5, s8, v3, v2
	s_delay_alu instid0(VALU_DEP_1) | instskip(NEXT) | instid1(VALU_DEP_1)
	v_mad_nc_u64_u32 v[2:3], s10, v0, v[4:5]
	v_mad_u32 v0, s11, v0, v3
	s_delay_alu instid0(VALU_DEP_1)
	v_mad_u32 v3, s10, v1, v0
	s_wait_loadcnt 0x0
	global_store_b8 v[2:3], v6, off
.LBB28_6:
	s_endpgm
.LBB28_7:
                                        ; implicit-def: $sgpr6_sgpr7
	s_branch .LBB28_2
	.section	.rodata,"a",@progbits
	.p2align	6, 0x0
	.amdhsa_kernel _ZN2at6native31max_unpooling3d_backward_kernelIaEEvPKT_lllN5torch10headeronly6detail27GenericPackedTensorAccessorINS7_14TensorAccessorIN3c108ArrayRefIlEElLm3ENS6_16DefaultPtrTraitsElEENS_6detail16IndexBoundsCheckILm4ElEElLm4ESD_lEENS8_INS9_ISC_S2_Lm3ESD_lEESH_S2_Lm4ESD_lEEi
		.amdhsa_group_segment_fixed_size 0
		.amdhsa_private_segment_fixed_size 0
		.amdhsa_kernarg_size 440
		.amdhsa_user_sgpr_count 2
		.amdhsa_user_sgpr_dispatch_ptr 0
		.amdhsa_user_sgpr_queue_ptr 0
		.amdhsa_user_sgpr_kernarg_segment_ptr 1
		.amdhsa_user_sgpr_dispatch_id 0
		.amdhsa_user_sgpr_kernarg_preload_length 0
		.amdhsa_user_sgpr_kernarg_preload_offset 0
		.amdhsa_user_sgpr_private_segment_size 0
		.amdhsa_wavefront_size32 1
		.amdhsa_uses_dynamic_stack 0
		.amdhsa_enable_private_segment 0
		.amdhsa_system_sgpr_workgroup_id_x 1
		.amdhsa_system_sgpr_workgroup_id_y 1
		.amdhsa_system_sgpr_workgroup_id_z 1
		.amdhsa_system_sgpr_workgroup_info 0
		.amdhsa_system_vgpr_workitem_id 1
		.amdhsa_next_free_vgpr 8
		.amdhsa_next_free_sgpr 25
		.amdhsa_named_barrier_count 0
		.amdhsa_reserve_vcc 1
		.amdhsa_float_round_mode_32 0
		.amdhsa_float_round_mode_16_64 0
		.amdhsa_float_denorm_mode_32 3
		.amdhsa_float_denorm_mode_16_64 3
		.amdhsa_fp16_overflow 0
		.amdhsa_memory_ordered 1
		.amdhsa_forward_progress 1
		.amdhsa_inst_pref_size 10
		.amdhsa_round_robin_scheduling 0
		.amdhsa_exception_fp_ieee_invalid_op 0
		.amdhsa_exception_fp_denorm_src 0
		.amdhsa_exception_fp_ieee_div_zero 0
		.amdhsa_exception_fp_ieee_overflow 0
		.amdhsa_exception_fp_ieee_underflow 0
		.amdhsa_exception_fp_ieee_inexact 0
		.amdhsa_exception_int_div_zero 0
	.end_amdhsa_kernel
	.section	.text._ZN2at6native31max_unpooling3d_backward_kernelIaEEvPKT_lllN5torch10headeronly6detail27GenericPackedTensorAccessorINS7_14TensorAccessorIN3c108ArrayRefIlEElLm3ENS6_16DefaultPtrTraitsElEENS_6detail16IndexBoundsCheckILm4ElEElLm4ESD_lEENS8_INS9_ISC_S2_Lm3ESD_lEESH_S2_Lm4ESD_lEEi,"axG",@progbits,_ZN2at6native31max_unpooling3d_backward_kernelIaEEvPKT_lllN5torch10headeronly6detail27GenericPackedTensorAccessorINS7_14TensorAccessorIN3c108ArrayRefIlEElLm3ENS6_16DefaultPtrTraitsElEENS_6detail16IndexBoundsCheckILm4ElEElLm4ESD_lEENS8_INS9_ISC_S2_Lm3ESD_lEESH_S2_Lm4ESD_lEEi,comdat
.Lfunc_end28:
	.size	_ZN2at6native31max_unpooling3d_backward_kernelIaEEvPKT_lllN5torch10headeronly6detail27GenericPackedTensorAccessorINS7_14TensorAccessorIN3c108ArrayRefIlEElLm3ENS6_16DefaultPtrTraitsElEENS_6detail16IndexBoundsCheckILm4ElEElLm4ESD_lEENS8_INS9_ISC_S2_Lm3ESD_lEESH_S2_Lm4ESD_lEEi, .Lfunc_end28-_ZN2at6native31max_unpooling3d_backward_kernelIaEEvPKT_lllN5torch10headeronly6detail27GenericPackedTensorAccessorINS7_14TensorAccessorIN3c108ArrayRefIlEElLm3ENS6_16DefaultPtrTraitsElEENS_6detail16IndexBoundsCheckILm4ElEElLm4ESD_lEENS8_INS9_ISC_S2_Lm3ESD_lEESH_S2_Lm4ESD_lEEi
                                        ; -- End function
	.set _ZN2at6native31max_unpooling3d_backward_kernelIaEEvPKT_lllN5torch10headeronly6detail27GenericPackedTensorAccessorINS7_14TensorAccessorIN3c108ArrayRefIlEElLm3ENS6_16DefaultPtrTraitsElEENS_6detail16IndexBoundsCheckILm4ElEElLm4ESD_lEENS8_INS9_ISC_S2_Lm3ESD_lEESH_S2_Lm4ESD_lEEi.num_vgpr, 8
	.set _ZN2at6native31max_unpooling3d_backward_kernelIaEEvPKT_lllN5torch10headeronly6detail27GenericPackedTensorAccessorINS7_14TensorAccessorIN3c108ArrayRefIlEElLm3ENS6_16DefaultPtrTraitsElEENS_6detail16IndexBoundsCheckILm4ElEElLm4ESD_lEENS8_INS9_ISC_S2_Lm3ESD_lEESH_S2_Lm4ESD_lEEi.num_agpr, 0
	.set _ZN2at6native31max_unpooling3d_backward_kernelIaEEvPKT_lllN5torch10headeronly6detail27GenericPackedTensorAccessorINS7_14TensorAccessorIN3c108ArrayRefIlEElLm3ENS6_16DefaultPtrTraitsElEENS_6detail16IndexBoundsCheckILm4ElEElLm4ESD_lEENS8_INS9_ISC_S2_Lm3ESD_lEESH_S2_Lm4ESD_lEEi.numbered_sgpr, 25
	.set _ZN2at6native31max_unpooling3d_backward_kernelIaEEvPKT_lllN5torch10headeronly6detail27GenericPackedTensorAccessorINS7_14TensorAccessorIN3c108ArrayRefIlEElLm3ENS6_16DefaultPtrTraitsElEENS_6detail16IndexBoundsCheckILm4ElEElLm4ESD_lEENS8_INS9_ISC_S2_Lm3ESD_lEESH_S2_Lm4ESD_lEEi.num_named_barrier, 0
	.set _ZN2at6native31max_unpooling3d_backward_kernelIaEEvPKT_lllN5torch10headeronly6detail27GenericPackedTensorAccessorINS7_14TensorAccessorIN3c108ArrayRefIlEElLm3ENS6_16DefaultPtrTraitsElEENS_6detail16IndexBoundsCheckILm4ElEElLm4ESD_lEENS8_INS9_ISC_S2_Lm3ESD_lEESH_S2_Lm4ESD_lEEi.private_seg_size, 0
	.set _ZN2at6native31max_unpooling3d_backward_kernelIaEEvPKT_lllN5torch10headeronly6detail27GenericPackedTensorAccessorINS7_14TensorAccessorIN3c108ArrayRefIlEElLm3ENS6_16DefaultPtrTraitsElEENS_6detail16IndexBoundsCheckILm4ElEElLm4ESD_lEENS8_INS9_ISC_S2_Lm3ESD_lEESH_S2_Lm4ESD_lEEi.uses_vcc, 1
	.set _ZN2at6native31max_unpooling3d_backward_kernelIaEEvPKT_lllN5torch10headeronly6detail27GenericPackedTensorAccessorINS7_14TensorAccessorIN3c108ArrayRefIlEElLm3ENS6_16DefaultPtrTraitsElEENS_6detail16IndexBoundsCheckILm4ElEElLm4ESD_lEENS8_INS9_ISC_S2_Lm3ESD_lEESH_S2_Lm4ESD_lEEi.uses_flat_scratch, 0
	.set _ZN2at6native31max_unpooling3d_backward_kernelIaEEvPKT_lllN5torch10headeronly6detail27GenericPackedTensorAccessorINS7_14TensorAccessorIN3c108ArrayRefIlEElLm3ENS6_16DefaultPtrTraitsElEENS_6detail16IndexBoundsCheckILm4ElEElLm4ESD_lEENS8_INS9_ISC_S2_Lm3ESD_lEESH_S2_Lm4ESD_lEEi.has_dyn_sized_stack, 0
	.set _ZN2at6native31max_unpooling3d_backward_kernelIaEEvPKT_lllN5torch10headeronly6detail27GenericPackedTensorAccessorINS7_14TensorAccessorIN3c108ArrayRefIlEElLm3ENS6_16DefaultPtrTraitsElEENS_6detail16IndexBoundsCheckILm4ElEElLm4ESD_lEENS8_INS9_ISC_S2_Lm3ESD_lEESH_S2_Lm4ESD_lEEi.has_recursion, 0
	.set _ZN2at6native31max_unpooling3d_backward_kernelIaEEvPKT_lllN5torch10headeronly6detail27GenericPackedTensorAccessorINS7_14TensorAccessorIN3c108ArrayRefIlEElLm3ENS6_16DefaultPtrTraitsElEENS_6detail16IndexBoundsCheckILm4ElEElLm4ESD_lEENS8_INS9_ISC_S2_Lm3ESD_lEESH_S2_Lm4ESD_lEEi.has_indirect_call, 0
	.section	.AMDGPU.csdata,"",@progbits
; Kernel info:
; codeLenInByte = 1264
; TotalNumSgprs: 27
; NumVgprs: 8
; ScratchSize: 0
; MemoryBound: 0
; FloatMode: 240
; IeeeMode: 1
; LDSByteSize: 0 bytes/workgroup (compile time only)
; SGPRBlocks: 0
; VGPRBlocks: 0
; NumSGPRsForWavesPerEU: 27
; NumVGPRsForWavesPerEU: 8
; NamedBarCnt: 0
; Occupancy: 16
; WaveLimiterHint : 1
; COMPUTE_PGM_RSRC2:SCRATCH_EN: 0
; COMPUTE_PGM_RSRC2:USER_SGPR: 2
; COMPUTE_PGM_RSRC2:TRAP_HANDLER: 0
; COMPUTE_PGM_RSRC2:TGID_X_EN: 1
; COMPUTE_PGM_RSRC2:TGID_Y_EN: 1
; COMPUTE_PGM_RSRC2:TGID_Z_EN: 1
; COMPUTE_PGM_RSRC2:TIDIG_COMP_CNT: 1
	.section	.text._ZN2at6native31max_unpooling3d_backward_kernelIiEEvPKT_lllN5torch10headeronly6detail27GenericPackedTensorAccessorINS7_14TensorAccessorIN3c108ArrayRefIlEElLm3ENS6_16DefaultPtrTraitsElEENS_6detail16IndexBoundsCheckILm4ElEElLm4ESD_lEENS8_INS9_ISC_S2_Lm3ESD_lEESH_S2_Lm4ESD_lEEi,"axG",@progbits,_ZN2at6native31max_unpooling3d_backward_kernelIiEEvPKT_lllN5torch10headeronly6detail27GenericPackedTensorAccessorINS7_14TensorAccessorIN3c108ArrayRefIlEElLm3ENS6_16DefaultPtrTraitsElEENS_6detail16IndexBoundsCheckILm4ElEElLm4ESD_lEENS8_INS9_ISC_S2_Lm3ESD_lEESH_S2_Lm4ESD_lEEi,comdat
	.protected	_ZN2at6native31max_unpooling3d_backward_kernelIiEEvPKT_lllN5torch10headeronly6detail27GenericPackedTensorAccessorINS7_14TensorAccessorIN3c108ArrayRefIlEElLm3ENS6_16DefaultPtrTraitsElEENS_6detail16IndexBoundsCheckILm4ElEElLm4ESD_lEENS8_INS9_ISC_S2_Lm3ESD_lEESH_S2_Lm4ESD_lEEi ; -- Begin function _ZN2at6native31max_unpooling3d_backward_kernelIiEEvPKT_lllN5torch10headeronly6detail27GenericPackedTensorAccessorINS7_14TensorAccessorIN3c108ArrayRefIlEElLm3ENS6_16DefaultPtrTraitsElEENS_6detail16IndexBoundsCheckILm4ElEElLm4ESD_lEENS8_INS9_ISC_S2_Lm3ESD_lEESH_S2_Lm4ESD_lEEi
	.globl	_ZN2at6native31max_unpooling3d_backward_kernelIiEEvPKT_lllN5torch10headeronly6detail27GenericPackedTensorAccessorINS7_14TensorAccessorIN3c108ArrayRefIlEElLm3ENS6_16DefaultPtrTraitsElEENS_6detail16IndexBoundsCheckILm4ElEElLm4ESD_lEENS8_INS9_ISC_S2_Lm3ESD_lEESH_S2_Lm4ESD_lEEi
	.p2align	8
	.type	_ZN2at6native31max_unpooling3d_backward_kernelIiEEvPKT_lllN5torch10headeronly6detail27GenericPackedTensorAccessorINS7_14TensorAccessorIN3c108ArrayRefIlEElLm3ENS6_16DefaultPtrTraitsElEENS_6detail16IndexBoundsCheckILm4ElEElLm4ESD_lEENS8_INS9_ISC_S2_Lm3ESD_lEESH_S2_Lm4ESD_lEEi,@function
_ZN2at6native31max_unpooling3d_backward_kernelIiEEvPKT_lllN5torch10headeronly6detail27GenericPackedTensorAccessorINS7_14TensorAccessorIN3c108ArrayRefIlEElLm3ENS6_16DefaultPtrTraitsElEENS_6detail16IndexBoundsCheckILm4ElEElLm4ESD_lEENS8_INS9_ISC_S2_Lm3ESD_lEESH_S2_Lm4ESD_lEEi: ; @_ZN2at6native31max_unpooling3d_backward_kernelIiEEvPKT_lllN5torch10headeronly6detail27GenericPackedTensorAccessorINS7_14TensorAccessorIN3c108ArrayRefIlEElLm3ENS6_16DefaultPtrTraitsElEENS_6detail16IndexBoundsCheckILm4ElEElLm4ESD_lEENS8_INS9_ISC_S2_Lm3ESD_lEESH_S2_Lm4ESD_lEEi
; %bb.0:
	v_mov_b32_e32 v1, 0
	s_bfe_u32 s5, ttmp6, 0x40014
	s_lshr_b32 s6, ttmp7, 16
	s_add_co_i32 s5, s5, 1
	s_bfe_u32 s7, ttmp6, 0x40008
	global_load_u16 v1, v1, s[0:1] offset:198
	s_clause 0x1
	s_load_b64 s[2:3], s[0:1], 0x78
	s_load_b32 s4, s[0:1], 0xb0
	s_mul_i32 s5, s6, s5
	s_getreg_b32 s10, hwreg(HW_REG_IB_STS2, 6, 4)
	s_add_co_i32 s7, s7, s5
	s_cmp_eq_u32 s10, 0
	s_cselect_b32 s5, s6, s7
	s_wait_kmcnt 0x0
	s_and_b64 s[6:7], s[2:3], 0xffffffff00000000
	s_add_co_i32 s4, s4, s5
	s_cmp_lg_u64 s[6:7], 0
	s_mov_b32 s5, 0
	s_cbranch_scc0 .LBB29_7
; %bb.1:
	s_ashr_i32 s6, s3, 31
	s_mov_b32 s17, s5
	s_mov_b32 s7, s6
	;; [unrolled: 1-line block ×3, first 2 shown]
	s_add_nc_u64 s[8:9], s[2:3], s[6:7]
	s_delay_alu instid0(SALU_CYCLE_1) | instskip(NEXT) | instid1(SALU_CYCLE_1)
	s_xor_b64 s[8:9], s[8:9], s[6:7]
	s_cvt_f32_u32 s3, s8
	s_cvt_f32_u32 s11, s9
	s_sub_nc_u64 s[14:15], 0, s[8:9]
	s_delay_alu instid0(SALU_CYCLE_2) | instskip(NEXT) | instid1(SALU_CYCLE_3)
	s_fmamk_f32 s3, s11, 0x4f800000, s3
	v_s_rcp_f32 s3, s3
	s_delay_alu instid0(TRANS32_DEP_1) | instskip(NEXT) | instid1(SALU_CYCLE_3)
	s_mul_f32 s3, s3, 0x5f7ffffc
	s_mul_f32 s11, s3, 0x2f800000
	s_delay_alu instid0(SALU_CYCLE_3) | instskip(NEXT) | instid1(SALU_CYCLE_3)
	s_trunc_f32 s11, s11
	s_fmamk_f32 s3, s11, 0xcf800000, s3
	s_cvt_u32_f32 s13, s11
	s_delay_alu instid0(SALU_CYCLE_2) | instskip(NEXT) | instid1(SALU_CYCLE_3)
	s_cvt_u32_f32 s12, s3
	s_mul_u64 s[18:19], s[14:15], s[12:13]
	s_delay_alu instid0(SALU_CYCLE_1)
	s_mul_hi_u32 s23, s12, s19
	s_mul_i32 s22, s12, s19
	s_mul_hi_u32 s16, s12, s18
	s_mul_i32 s11, s13, s18
	s_add_nc_u64 s[16:17], s[16:17], s[22:23]
	s_mul_hi_u32 s3, s13, s18
	s_mul_hi_u32 s24, s13, s19
	s_add_co_u32 s11, s16, s11
	s_add_co_ci_u32 s20, s17, s3
	s_mul_i32 s18, s13, s19
	s_add_co_ci_u32 s19, s24, 0
	s_delay_alu instid0(SALU_CYCLE_1) | instskip(SKIP_3) | instid1(SALU_CYCLE_1)
	s_add_nc_u64 s[16:17], s[20:21], s[18:19]
	s_mov_b32 s19, s5
	s_add_co_u32 s12, s12, s16
	s_cselect_b32 s3, -1, 0
	s_cmp_lg_u32 s3, 0
	s_add_co_ci_u32 s13, s13, s17
	s_mov_b32 s17, s5
	s_mul_u64 s[14:15], s[14:15], s[12:13]
	s_delay_alu instid0(SALU_CYCLE_1)
	s_mul_hi_u32 s21, s12, s15
	s_mul_i32 s20, s12, s15
	s_mul_hi_u32 s16, s12, s14
	s_mul_i32 s11, s13, s14
	s_add_nc_u64 s[16:17], s[16:17], s[20:21]
	s_mul_hi_u32 s3, s13, s14
	s_mul_hi_u32 s22, s13, s15
	s_add_co_u32 s11, s16, s11
	s_add_co_ci_u32 s18, s17, s3
	s_mul_i32 s14, s13, s15
	s_add_co_ci_u32 s15, s22, 0
	s_add_nc_u64 s[16:17], s[4:5], 0
	s_add_nc_u64 s[14:15], s[18:19], s[14:15]
	s_delay_alu instid0(SALU_CYCLE_1) | instskip(SKIP_1) | instid1(SALU_CYCLE_1)
	s_add_co_u32 s3, s12, s14
	s_cselect_b32 s11, -1, 0
	s_cmp_lg_u32 s11, 0
	s_add_co_ci_u32 s11, s13, s15
	s_xor_b64 s[12:13], s[16:17], 0
	s_mov_b32 s15, s5
	s_mul_hi_u32 s17, s12, s11
	s_mul_i32 s16, s12, s11
	s_mul_hi_u32 s18, s12, s3
	s_mul_hi_u32 s14, s13, s3
	s_mul_i32 s3, s13, s3
	s_add_nc_u64 s[16:17], s[18:19], s[16:17]
	s_mul_hi_u32 s20, s13, s11
	s_add_co_u32 s3, s16, s3
	s_add_co_ci_u32 s14, s17, s14
	s_mul_i32 s18, s13, s11
	s_add_co_ci_u32 s19, s20, 0
	s_delay_alu instid0(SALU_CYCLE_1) | instskip(NEXT) | instid1(SALU_CYCLE_1)
	s_add_nc_u64 s[14:15], s[14:15], s[18:19]
	s_and_b64 s[16:17], s[14:15], 0xffffffff00000000
	s_delay_alu instid0(SALU_CYCLE_1) | instskip(NEXT) | instid1(SALU_CYCLE_1)
	s_or_b32 s16, s16, s14
	s_mul_u64 s[14:15], s[8:9], s[16:17]
	s_delay_alu instid0(SALU_CYCLE_1)
	s_sub_co_u32 s3, s12, s14
	s_cselect_b32 s11, -1, 0
	s_sub_co_i32 s12, s13, s15
	s_cmp_lg_u32 s11, 0
	s_sub_co_ci_u32 s12, s12, s9
	s_sub_co_u32 s14, s3, s8
	s_cselect_b32 s18, -1, 0
	s_delay_alu instid0(SALU_CYCLE_1) | instskip(SKIP_2) | instid1(SALU_CYCLE_1)
	s_cmp_lg_u32 s18, 0
	s_add_nc_u64 s[18:19], s[16:17], 1
	s_sub_co_ci_u32 s12, s12, 0
	s_cmp_ge_u32 s12, s9
	s_cselect_b32 s20, -1, 0
	s_cmp_ge_u32 s14, s8
	s_cselect_b32 s14, -1, 0
	s_cmp_eq_u32 s12, s9
	s_cselect_b32 s12, s14, s20
	s_add_nc_u64 s[20:21], s[16:17], 2
	s_cmp_lg_u32 s12, 0
	s_cselect_b32 s12, s20, s18
	s_cselect_b32 s14, s21, s19
	s_cmp_lg_u32 s11, 0
	s_sub_co_ci_u32 s11, s13, s15
	s_delay_alu instid0(SALU_CYCLE_1)
	s_cmp_ge_u32 s11, s9
	s_cselect_b32 s13, -1, 0
	s_cmp_ge_u32 s3, s8
	s_cselect_b32 s3, -1, 0
	s_cmp_eq_u32 s11, s9
	s_cselect_b32 s3, s3, s13
	s_delay_alu instid0(SALU_CYCLE_1) | instskip(SKIP_3) | instid1(SALU_CYCLE_1)
	s_cmp_lg_u32 s3, 0
	s_cselect_b32 s9, s14, s17
	s_cselect_b32 s8, s12, s16
	s_xor_b64 s[6:7], 0, s[6:7]
	s_xor_b64 s[8:9], s[8:9], s[6:7]
	s_delay_alu instid0(SALU_CYCLE_1)
	s_sub_nc_u64 s[6:7], s[8:9], s[6:7]
	s_and_not1_b32 vcc_lo, exec_lo, s5
	s_cbranch_vccnz .LBB29_3
.LBB29_2:
	v_cvt_f32_u32_e32 v2, s2
	s_sub_co_i32 s5, 0, s2
	s_delay_alu instid0(VALU_DEP_1) | instskip(SKIP_1) | instid1(TRANS32_DEP_1)
	v_rcp_iflag_f32_e32 v2, v2
	v_nop
	v_mul_f32_e32 v2, 0x4f7ffffe, v2
	s_delay_alu instid0(VALU_DEP_1) | instskip(NEXT) | instid1(VALU_DEP_1)
	v_cvt_u32_f32_e32 v2, v2
	v_readfirstlane_b32 s3, v2
	s_mul_i32 s5, s5, s3
	s_delay_alu instid0(SALU_CYCLE_1) | instskip(NEXT) | instid1(SALU_CYCLE_1)
	s_mul_hi_u32 s5, s3, s5
	s_add_co_i32 s3, s3, s5
	s_delay_alu instid0(SALU_CYCLE_1) | instskip(NEXT) | instid1(SALU_CYCLE_1)
	s_mul_hi_u32 s3, s4, s3
	s_mul_i32 s5, s3, s2
	s_add_co_i32 s6, s3, 1
	s_sub_co_i32 s5, s4, s5
	s_delay_alu instid0(SALU_CYCLE_1)
	s_sub_co_i32 s7, s5, s2
	s_cmp_ge_u32 s5, s2
	s_cselect_b32 s3, s6, s3
	s_cselect_b32 s5, s7, s5
	s_add_co_i32 s6, s3, 1
	s_cmp_ge_u32 s5, s2
	s_mov_b32 s7, 0
	s_cselect_b32 s6, s6, s3
.LBB29_3:
	s_bfe_u32 s3, ttmp6, 0x40010
	s_and_b32 s5, ttmp7, 0xffff
	s_add_co_i32 s3, s3, 1
	s_bfe_u32 s8, ttmp6, 0x40004
	s_mul_i32 s3, s5, s3
	s_wait_loadcnt 0x0
	v_and_b32_e32 v1, 0xffff, v1
	s_add_co_i32 s3, s8, s3
	v_bfe_u32 v2, v0, 10, 10
	s_cmp_eq_u32 s10, 0
	s_load_b64 s[8:9], s[0:1], 0x80
	s_cselect_b32 s3, s5, s3
	s_delay_alu instid0(VALU_DEP_1) | instid1(SALU_CYCLE_1)
	v_mad_u32 v2, s3, v1, v2
	s_mov_b32 s3, exec_lo
	s_delay_alu instid0(VALU_DEP_1) | instskip(SKIP_1) | instid1(VALU_DEP_1)
	v_ashrrev_i32_e32 v3, 31, v2
	s_wait_kmcnt 0x0
	v_cmpx_gt_i64_e64 s[8:9], v[2:3]
	s_cbranch_execz .LBB29_6
; %bb.4:
	s_add_nc_u64 s[8:9], s[0:1], 0xb8
	s_bfe_u32 s5, ttmp6, 0x4000c
	s_load_b32 s3, s[8:9], 0xc
	s_add_co_i32 s5, s5, 1
	s_wait_xcnt 0x0
	s_and_b32 s8, ttmp6, 15
	s_mul_i32 s5, ttmp9, s5
	v_and_b32_e32 v0, 0x3ff, v0
	s_add_co_i32 s5, s8, s5
	s_load_b64 s[8:9], s[0:1], 0x88
	s_wait_kmcnt 0x0
	s_and_b32 s3, s3, 0xffff
	s_cmp_eq_u32 s10, 0
	s_cselect_b32 s5, ttmp9, s5
	s_delay_alu instid0(SALU_CYCLE_1) | instskip(NEXT) | instid1(VALU_DEP_1)
	v_mad_u32 v0, s5, s3, v0
	v_ashrrev_i32_e32 v1, 31, v0
	s_delay_alu instid0(VALU_DEP_1)
	v_cmp_gt_i64_e32 vcc_lo, s[8:9], v[0:1]
	s_and_b32 exec_lo, exec_lo, vcc_lo
	s_cbranch_execz .LBB29_6
; %bb.5:
	s_load_b256 s[8:15], s[0:1], 0x48
	s_mul_i32 s5, s6, s2
	s_bfe_i64 s[2:3], s[6:7], 0x200000
	s_wait_kmcnt 0x0
	v_mul_u64_e32 v[4:5], s[12:13], v[2:3]
	v_mul_u64_e32 v[6:7], s[14:15], v[0:1]
	s_load_b64 s[12:13], s[0:1], 0x20
	s_sub_co_i32 s14, s4, s5
	s_mul_u64 s[4:5], s[8:9], s[2:3]
	s_ashr_i32 s15, s14, 31
	s_lshl_b64 s[4:5], s[4:5], 3
	s_mul_u64 s[6:7], s[10:11], s[14:15]
	s_delay_alu instid0(SALU_CYCLE_1) | instskip(SKIP_2) | instid1(SALU_CYCLE_1)
	s_lshl_b64 s[6:7], s[6:7], 3
	s_wait_kmcnt 0x0
	s_add_nc_u64 s[4:5], s[12:13], s[4:5]
	s_add_nc_u64 s[4:5], s[4:5], s[6:7]
	s_delay_alu instid0(VALU_DEP_2) | instid1(SALU_CYCLE_1)
	v_lshl_add_u64 v[4:5], v[4:5], 3, s[4:5]
	s_load_b256 s[4:11], s[0:1], 0x0
	s_delay_alu instid0(VALU_DEP_1) | instskip(SKIP_3) | instid1(SALU_CYCLE_1)
	v_lshl_add_u64 v[4:5], v[6:7], 3, v[4:5]
	global_load_b64 v[4:5], v[4:5], off
	s_wait_kmcnt 0x0
	s_mul_u64 s[6:7], s[8:9], s[6:7]
	s_mul_u64 s[6:7], s[6:7], s[10:11]
	s_delay_alu instid0(SALU_CYCLE_1) | instskip(NEXT) | instid1(SALU_CYCLE_1)
	s_mul_u64 s[6:7], s[6:7], s[2:3]
	s_lshl_b64 s[6:7], s[6:7], 2
	s_delay_alu instid0(SALU_CYCLE_1)
	s_add_nc_u64 s[4:5], s[4:5], s[6:7]
	s_wait_loadcnt 0x0
	v_lshl_add_u64 v[4:5], v[4:5], 2, s[4:5]
	s_load_b256 s[4:11], s[0:1], 0x90
	global_load_b32 v4, v[4:5], off
	s_load_b64 s[0:1], s[0:1], 0x68
	s_wait_kmcnt 0x0
	v_mul_u64_e32 v[2:3], s[8:9], v[2:3]
	v_mul_u64_e32 v[0:1], s[10:11], v[0:1]
	s_mul_u64 s[2:3], s[4:5], s[2:3]
	s_mul_u64 s[4:5], s[6:7], s[14:15]
	s_lshl_b64 s[2:3], s[2:3], 2
	s_delay_alu instid0(SALU_CYCLE_1) | instskip(SKIP_1) | instid1(SALU_CYCLE_1)
	s_add_nc_u64 s[0:1], s[0:1], s[2:3]
	s_lshl_b64 s[2:3], s[4:5], 2
	s_add_nc_u64 s[0:1], s[0:1], s[2:3]
	s_delay_alu instid0(VALU_DEP_2) | instid1(SALU_CYCLE_1)
	v_lshl_add_u64 v[2:3], v[2:3], 2, s[0:1]
	s_delay_alu instid0(VALU_DEP_1)
	v_lshl_add_u64 v[0:1], v[0:1], 2, v[2:3]
	s_wait_loadcnt 0x0
	global_store_b32 v[0:1], v4, off
.LBB29_6:
	s_endpgm
.LBB29_7:
                                        ; implicit-def: $sgpr6_sgpr7
	s_branch .LBB29_2
	.section	.rodata,"a",@progbits
	.p2align	6, 0x0
	.amdhsa_kernel _ZN2at6native31max_unpooling3d_backward_kernelIiEEvPKT_lllN5torch10headeronly6detail27GenericPackedTensorAccessorINS7_14TensorAccessorIN3c108ArrayRefIlEElLm3ENS6_16DefaultPtrTraitsElEENS_6detail16IndexBoundsCheckILm4ElEElLm4ESD_lEENS8_INS9_ISC_S2_Lm3ESD_lEESH_S2_Lm4ESD_lEEi
		.amdhsa_group_segment_fixed_size 0
		.amdhsa_private_segment_fixed_size 0
		.amdhsa_kernarg_size 440
		.amdhsa_user_sgpr_count 2
		.amdhsa_user_sgpr_dispatch_ptr 0
		.amdhsa_user_sgpr_queue_ptr 0
		.amdhsa_user_sgpr_kernarg_segment_ptr 1
		.amdhsa_user_sgpr_dispatch_id 0
		.amdhsa_user_sgpr_kernarg_preload_length 0
		.amdhsa_user_sgpr_kernarg_preload_offset 0
		.amdhsa_user_sgpr_private_segment_size 0
		.amdhsa_wavefront_size32 1
		.amdhsa_uses_dynamic_stack 0
		.amdhsa_enable_private_segment 0
		.amdhsa_system_sgpr_workgroup_id_x 1
		.amdhsa_system_sgpr_workgroup_id_y 1
		.amdhsa_system_sgpr_workgroup_id_z 1
		.amdhsa_system_sgpr_workgroup_info 0
		.amdhsa_system_vgpr_workitem_id 1
		.amdhsa_next_free_vgpr 8
		.amdhsa_next_free_sgpr 25
		.amdhsa_named_barrier_count 0
		.amdhsa_reserve_vcc 1
		.amdhsa_float_round_mode_32 0
		.amdhsa_float_round_mode_16_64 0
		.amdhsa_float_denorm_mode_32 3
		.amdhsa_float_denorm_mode_16_64 3
		.amdhsa_fp16_overflow 0
		.amdhsa_memory_ordered 1
		.amdhsa_forward_progress 1
		.amdhsa_inst_pref_size 10
		.amdhsa_round_robin_scheduling 0
		.amdhsa_exception_fp_ieee_invalid_op 0
		.amdhsa_exception_fp_denorm_src 0
		.amdhsa_exception_fp_ieee_div_zero 0
		.amdhsa_exception_fp_ieee_overflow 0
		.amdhsa_exception_fp_ieee_underflow 0
		.amdhsa_exception_fp_ieee_inexact 0
		.amdhsa_exception_int_div_zero 0
	.end_amdhsa_kernel
	.section	.text._ZN2at6native31max_unpooling3d_backward_kernelIiEEvPKT_lllN5torch10headeronly6detail27GenericPackedTensorAccessorINS7_14TensorAccessorIN3c108ArrayRefIlEElLm3ENS6_16DefaultPtrTraitsElEENS_6detail16IndexBoundsCheckILm4ElEElLm4ESD_lEENS8_INS9_ISC_S2_Lm3ESD_lEESH_S2_Lm4ESD_lEEi,"axG",@progbits,_ZN2at6native31max_unpooling3d_backward_kernelIiEEvPKT_lllN5torch10headeronly6detail27GenericPackedTensorAccessorINS7_14TensorAccessorIN3c108ArrayRefIlEElLm3ENS6_16DefaultPtrTraitsElEENS_6detail16IndexBoundsCheckILm4ElEElLm4ESD_lEENS8_INS9_ISC_S2_Lm3ESD_lEESH_S2_Lm4ESD_lEEi,comdat
.Lfunc_end29:
	.size	_ZN2at6native31max_unpooling3d_backward_kernelIiEEvPKT_lllN5torch10headeronly6detail27GenericPackedTensorAccessorINS7_14TensorAccessorIN3c108ArrayRefIlEElLm3ENS6_16DefaultPtrTraitsElEENS_6detail16IndexBoundsCheckILm4ElEElLm4ESD_lEENS8_INS9_ISC_S2_Lm3ESD_lEESH_S2_Lm4ESD_lEEi, .Lfunc_end29-_ZN2at6native31max_unpooling3d_backward_kernelIiEEvPKT_lllN5torch10headeronly6detail27GenericPackedTensorAccessorINS7_14TensorAccessorIN3c108ArrayRefIlEElLm3ENS6_16DefaultPtrTraitsElEENS_6detail16IndexBoundsCheckILm4ElEElLm4ESD_lEENS8_INS9_ISC_S2_Lm3ESD_lEESH_S2_Lm4ESD_lEEi
                                        ; -- End function
	.set _ZN2at6native31max_unpooling3d_backward_kernelIiEEvPKT_lllN5torch10headeronly6detail27GenericPackedTensorAccessorINS7_14TensorAccessorIN3c108ArrayRefIlEElLm3ENS6_16DefaultPtrTraitsElEENS_6detail16IndexBoundsCheckILm4ElEElLm4ESD_lEENS8_INS9_ISC_S2_Lm3ESD_lEESH_S2_Lm4ESD_lEEi.num_vgpr, 8
	.set _ZN2at6native31max_unpooling3d_backward_kernelIiEEvPKT_lllN5torch10headeronly6detail27GenericPackedTensorAccessorINS7_14TensorAccessorIN3c108ArrayRefIlEElLm3ENS6_16DefaultPtrTraitsElEENS_6detail16IndexBoundsCheckILm4ElEElLm4ESD_lEENS8_INS9_ISC_S2_Lm3ESD_lEESH_S2_Lm4ESD_lEEi.num_agpr, 0
	.set _ZN2at6native31max_unpooling3d_backward_kernelIiEEvPKT_lllN5torch10headeronly6detail27GenericPackedTensorAccessorINS7_14TensorAccessorIN3c108ArrayRefIlEElLm3ENS6_16DefaultPtrTraitsElEENS_6detail16IndexBoundsCheckILm4ElEElLm4ESD_lEENS8_INS9_ISC_S2_Lm3ESD_lEESH_S2_Lm4ESD_lEEi.numbered_sgpr, 25
	.set _ZN2at6native31max_unpooling3d_backward_kernelIiEEvPKT_lllN5torch10headeronly6detail27GenericPackedTensorAccessorINS7_14TensorAccessorIN3c108ArrayRefIlEElLm3ENS6_16DefaultPtrTraitsElEENS_6detail16IndexBoundsCheckILm4ElEElLm4ESD_lEENS8_INS9_ISC_S2_Lm3ESD_lEESH_S2_Lm4ESD_lEEi.num_named_barrier, 0
	.set _ZN2at6native31max_unpooling3d_backward_kernelIiEEvPKT_lllN5torch10headeronly6detail27GenericPackedTensorAccessorINS7_14TensorAccessorIN3c108ArrayRefIlEElLm3ENS6_16DefaultPtrTraitsElEENS_6detail16IndexBoundsCheckILm4ElEElLm4ESD_lEENS8_INS9_ISC_S2_Lm3ESD_lEESH_S2_Lm4ESD_lEEi.private_seg_size, 0
	.set _ZN2at6native31max_unpooling3d_backward_kernelIiEEvPKT_lllN5torch10headeronly6detail27GenericPackedTensorAccessorINS7_14TensorAccessorIN3c108ArrayRefIlEElLm3ENS6_16DefaultPtrTraitsElEENS_6detail16IndexBoundsCheckILm4ElEElLm4ESD_lEENS8_INS9_ISC_S2_Lm3ESD_lEESH_S2_Lm4ESD_lEEi.uses_vcc, 1
	.set _ZN2at6native31max_unpooling3d_backward_kernelIiEEvPKT_lllN5torch10headeronly6detail27GenericPackedTensorAccessorINS7_14TensorAccessorIN3c108ArrayRefIlEElLm3ENS6_16DefaultPtrTraitsElEENS_6detail16IndexBoundsCheckILm4ElEElLm4ESD_lEENS8_INS9_ISC_S2_Lm3ESD_lEESH_S2_Lm4ESD_lEEi.uses_flat_scratch, 0
	.set _ZN2at6native31max_unpooling3d_backward_kernelIiEEvPKT_lllN5torch10headeronly6detail27GenericPackedTensorAccessorINS7_14TensorAccessorIN3c108ArrayRefIlEElLm3ENS6_16DefaultPtrTraitsElEENS_6detail16IndexBoundsCheckILm4ElEElLm4ESD_lEENS8_INS9_ISC_S2_Lm3ESD_lEESH_S2_Lm4ESD_lEEi.has_dyn_sized_stack, 0
	.set _ZN2at6native31max_unpooling3d_backward_kernelIiEEvPKT_lllN5torch10headeronly6detail27GenericPackedTensorAccessorINS7_14TensorAccessorIN3c108ArrayRefIlEElLm3ENS6_16DefaultPtrTraitsElEENS_6detail16IndexBoundsCheckILm4ElEElLm4ESD_lEENS8_INS9_ISC_S2_Lm3ESD_lEESH_S2_Lm4ESD_lEEi.has_recursion, 0
	.set _ZN2at6native31max_unpooling3d_backward_kernelIiEEvPKT_lllN5torch10headeronly6detail27GenericPackedTensorAccessorINS7_14TensorAccessorIN3c108ArrayRefIlEElLm3ENS6_16DefaultPtrTraitsElEENS_6detail16IndexBoundsCheckILm4ElEElLm4ESD_lEENS8_INS9_ISC_S2_Lm3ESD_lEESH_S2_Lm4ESD_lEEi.has_indirect_call, 0
	.section	.AMDGPU.csdata,"",@progbits
; Kernel info:
; codeLenInByte = 1252
; TotalNumSgprs: 27
; NumVgprs: 8
; ScratchSize: 0
; MemoryBound: 0
; FloatMode: 240
; IeeeMode: 1
; LDSByteSize: 0 bytes/workgroup (compile time only)
; SGPRBlocks: 0
; VGPRBlocks: 0
; NumSGPRsForWavesPerEU: 27
; NumVGPRsForWavesPerEU: 8
; NamedBarCnt: 0
; Occupancy: 16
; WaveLimiterHint : 1
; COMPUTE_PGM_RSRC2:SCRATCH_EN: 0
; COMPUTE_PGM_RSRC2:USER_SGPR: 2
; COMPUTE_PGM_RSRC2:TRAP_HANDLER: 0
; COMPUTE_PGM_RSRC2:TGID_X_EN: 1
; COMPUTE_PGM_RSRC2:TGID_Y_EN: 1
; COMPUTE_PGM_RSRC2:TGID_Z_EN: 1
; COMPUTE_PGM_RSRC2:TIDIG_COMP_CNT: 1
	.section	.text._ZN2at6native31max_unpooling3d_backward_kernelIlEEvPKT_lllN5torch10headeronly6detail27GenericPackedTensorAccessorINS7_14TensorAccessorIN3c108ArrayRefIlEElLm3ENS6_16DefaultPtrTraitsElEENS_6detail16IndexBoundsCheckILm4ElEElLm4ESD_lEENS8_INS9_ISC_S2_Lm3ESD_lEESH_S2_Lm4ESD_lEEi,"axG",@progbits,_ZN2at6native31max_unpooling3d_backward_kernelIlEEvPKT_lllN5torch10headeronly6detail27GenericPackedTensorAccessorINS7_14TensorAccessorIN3c108ArrayRefIlEElLm3ENS6_16DefaultPtrTraitsElEENS_6detail16IndexBoundsCheckILm4ElEElLm4ESD_lEENS8_INS9_ISC_S2_Lm3ESD_lEESH_S2_Lm4ESD_lEEi,comdat
	.protected	_ZN2at6native31max_unpooling3d_backward_kernelIlEEvPKT_lllN5torch10headeronly6detail27GenericPackedTensorAccessorINS7_14TensorAccessorIN3c108ArrayRefIlEElLm3ENS6_16DefaultPtrTraitsElEENS_6detail16IndexBoundsCheckILm4ElEElLm4ESD_lEENS8_INS9_ISC_S2_Lm3ESD_lEESH_S2_Lm4ESD_lEEi ; -- Begin function _ZN2at6native31max_unpooling3d_backward_kernelIlEEvPKT_lllN5torch10headeronly6detail27GenericPackedTensorAccessorINS7_14TensorAccessorIN3c108ArrayRefIlEElLm3ENS6_16DefaultPtrTraitsElEENS_6detail16IndexBoundsCheckILm4ElEElLm4ESD_lEENS8_INS9_ISC_S2_Lm3ESD_lEESH_S2_Lm4ESD_lEEi
	.globl	_ZN2at6native31max_unpooling3d_backward_kernelIlEEvPKT_lllN5torch10headeronly6detail27GenericPackedTensorAccessorINS7_14TensorAccessorIN3c108ArrayRefIlEElLm3ENS6_16DefaultPtrTraitsElEENS_6detail16IndexBoundsCheckILm4ElEElLm4ESD_lEENS8_INS9_ISC_S2_Lm3ESD_lEESH_S2_Lm4ESD_lEEi
	.p2align	8
	.type	_ZN2at6native31max_unpooling3d_backward_kernelIlEEvPKT_lllN5torch10headeronly6detail27GenericPackedTensorAccessorINS7_14TensorAccessorIN3c108ArrayRefIlEElLm3ENS6_16DefaultPtrTraitsElEENS_6detail16IndexBoundsCheckILm4ElEElLm4ESD_lEENS8_INS9_ISC_S2_Lm3ESD_lEESH_S2_Lm4ESD_lEEi,@function
_ZN2at6native31max_unpooling3d_backward_kernelIlEEvPKT_lllN5torch10headeronly6detail27GenericPackedTensorAccessorINS7_14TensorAccessorIN3c108ArrayRefIlEElLm3ENS6_16DefaultPtrTraitsElEENS_6detail16IndexBoundsCheckILm4ElEElLm4ESD_lEENS8_INS9_ISC_S2_Lm3ESD_lEESH_S2_Lm4ESD_lEEi: ; @_ZN2at6native31max_unpooling3d_backward_kernelIlEEvPKT_lllN5torch10headeronly6detail27GenericPackedTensorAccessorINS7_14TensorAccessorIN3c108ArrayRefIlEElLm3ENS6_16DefaultPtrTraitsElEENS_6detail16IndexBoundsCheckILm4ElEElLm4ESD_lEENS8_INS9_ISC_S2_Lm3ESD_lEESH_S2_Lm4ESD_lEEi
; %bb.0:
	v_mov_b32_e32 v1, 0
	s_bfe_u32 s5, ttmp6, 0x40014
	s_lshr_b32 s6, ttmp7, 16
	s_add_co_i32 s5, s5, 1
	s_bfe_u32 s7, ttmp6, 0x40008
	global_load_u16 v1, v1, s[0:1] offset:198
	s_clause 0x1
	s_load_b64 s[2:3], s[0:1], 0x78
	s_load_b32 s4, s[0:1], 0xb0
	s_mul_i32 s5, s6, s5
	s_getreg_b32 s10, hwreg(HW_REG_IB_STS2, 6, 4)
	s_add_co_i32 s7, s7, s5
	s_cmp_eq_u32 s10, 0
	s_cselect_b32 s5, s6, s7
	s_wait_kmcnt 0x0
	s_and_b64 s[6:7], s[2:3], 0xffffffff00000000
	s_add_co_i32 s4, s4, s5
	s_cmp_lg_u64 s[6:7], 0
	s_mov_b32 s5, 0
	s_cbranch_scc0 .LBB30_7
; %bb.1:
	s_ashr_i32 s6, s3, 31
	s_mov_b32 s17, s5
	s_mov_b32 s7, s6
	;; [unrolled: 1-line block ×3, first 2 shown]
	s_add_nc_u64 s[8:9], s[2:3], s[6:7]
	s_delay_alu instid0(SALU_CYCLE_1) | instskip(NEXT) | instid1(SALU_CYCLE_1)
	s_xor_b64 s[8:9], s[8:9], s[6:7]
	s_cvt_f32_u32 s3, s8
	s_cvt_f32_u32 s11, s9
	s_sub_nc_u64 s[14:15], 0, s[8:9]
	s_delay_alu instid0(SALU_CYCLE_2) | instskip(NEXT) | instid1(SALU_CYCLE_3)
	s_fmamk_f32 s3, s11, 0x4f800000, s3
	v_s_rcp_f32 s3, s3
	s_delay_alu instid0(TRANS32_DEP_1) | instskip(NEXT) | instid1(SALU_CYCLE_3)
	s_mul_f32 s3, s3, 0x5f7ffffc
	s_mul_f32 s11, s3, 0x2f800000
	s_delay_alu instid0(SALU_CYCLE_3) | instskip(NEXT) | instid1(SALU_CYCLE_3)
	s_trunc_f32 s11, s11
	s_fmamk_f32 s3, s11, 0xcf800000, s3
	s_cvt_u32_f32 s13, s11
	s_delay_alu instid0(SALU_CYCLE_2) | instskip(NEXT) | instid1(SALU_CYCLE_3)
	s_cvt_u32_f32 s12, s3
	s_mul_u64 s[18:19], s[14:15], s[12:13]
	s_delay_alu instid0(SALU_CYCLE_1)
	s_mul_hi_u32 s23, s12, s19
	s_mul_i32 s22, s12, s19
	s_mul_hi_u32 s16, s12, s18
	s_mul_i32 s11, s13, s18
	s_add_nc_u64 s[16:17], s[16:17], s[22:23]
	s_mul_hi_u32 s3, s13, s18
	s_mul_hi_u32 s24, s13, s19
	s_add_co_u32 s11, s16, s11
	s_add_co_ci_u32 s20, s17, s3
	s_mul_i32 s18, s13, s19
	s_add_co_ci_u32 s19, s24, 0
	s_delay_alu instid0(SALU_CYCLE_1) | instskip(SKIP_3) | instid1(SALU_CYCLE_1)
	s_add_nc_u64 s[16:17], s[20:21], s[18:19]
	s_mov_b32 s19, s5
	s_add_co_u32 s12, s12, s16
	s_cselect_b32 s3, -1, 0
	s_cmp_lg_u32 s3, 0
	s_add_co_ci_u32 s13, s13, s17
	s_mov_b32 s17, s5
	s_mul_u64 s[14:15], s[14:15], s[12:13]
	s_delay_alu instid0(SALU_CYCLE_1)
	s_mul_hi_u32 s21, s12, s15
	s_mul_i32 s20, s12, s15
	s_mul_hi_u32 s16, s12, s14
	s_mul_i32 s11, s13, s14
	s_add_nc_u64 s[16:17], s[16:17], s[20:21]
	s_mul_hi_u32 s3, s13, s14
	s_mul_hi_u32 s22, s13, s15
	s_add_co_u32 s11, s16, s11
	s_add_co_ci_u32 s18, s17, s3
	s_mul_i32 s14, s13, s15
	s_add_co_ci_u32 s15, s22, 0
	s_add_nc_u64 s[16:17], s[4:5], 0
	s_add_nc_u64 s[14:15], s[18:19], s[14:15]
	s_delay_alu instid0(SALU_CYCLE_1) | instskip(SKIP_1) | instid1(SALU_CYCLE_1)
	s_add_co_u32 s3, s12, s14
	s_cselect_b32 s11, -1, 0
	s_cmp_lg_u32 s11, 0
	s_add_co_ci_u32 s11, s13, s15
	s_xor_b64 s[12:13], s[16:17], 0
	s_mov_b32 s15, s5
	s_mul_hi_u32 s17, s12, s11
	s_mul_i32 s16, s12, s11
	s_mul_hi_u32 s18, s12, s3
	s_mul_hi_u32 s14, s13, s3
	s_mul_i32 s3, s13, s3
	s_add_nc_u64 s[16:17], s[18:19], s[16:17]
	s_mul_hi_u32 s20, s13, s11
	s_add_co_u32 s3, s16, s3
	s_add_co_ci_u32 s14, s17, s14
	s_mul_i32 s18, s13, s11
	s_add_co_ci_u32 s19, s20, 0
	s_delay_alu instid0(SALU_CYCLE_1) | instskip(NEXT) | instid1(SALU_CYCLE_1)
	s_add_nc_u64 s[14:15], s[14:15], s[18:19]
	s_and_b64 s[16:17], s[14:15], 0xffffffff00000000
	s_delay_alu instid0(SALU_CYCLE_1) | instskip(NEXT) | instid1(SALU_CYCLE_1)
	s_or_b32 s16, s16, s14
	s_mul_u64 s[14:15], s[8:9], s[16:17]
	s_delay_alu instid0(SALU_CYCLE_1)
	s_sub_co_u32 s3, s12, s14
	s_cselect_b32 s11, -1, 0
	s_sub_co_i32 s12, s13, s15
	s_cmp_lg_u32 s11, 0
	s_sub_co_ci_u32 s12, s12, s9
	s_sub_co_u32 s14, s3, s8
	s_cselect_b32 s18, -1, 0
	s_delay_alu instid0(SALU_CYCLE_1) | instskip(SKIP_2) | instid1(SALU_CYCLE_1)
	s_cmp_lg_u32 s18, 0
	s_add_nc_u64 s[18:19], s[16:17], 1
	s_sub_co_ci_u32 s12, s12, 0
	s_cmp_ge_u32 s12, s9
	s_cselect_b32 s20, -1, 0
	s_cmp_ge_u32 s14, s8
	s_cselect_b32 s14, -1, 0
	s_cmp_eq_u32 s12, s9
	s_cselect_b32 s12, s14, s20
	s_add_nc_u64 s[20:21], s[16:17], 2
	s_cmp_lg_u32 s12, 0
	s_cselect_b32 s12, s20, s18
	s_cselect_b32 s14, s21, s19
	s_cmp_lg_u32 s11, 0
	s_sub_co_ci_u32 s11, s13, s15
	s_delay_alu instid0(SALU_CYCLE_1)
	s_cmp_ge_u32 s11, s9
	s_cselect_b32 s13, -1, 0
	s_cmp_ge_u32 s3, s8
	s_cselect_b32 s3, -1, 0
	s_cmp_eq_u32 s11, s9
	s_cselect_b32 s3, s3, s13
	s_delay_alu instid0(SALU_CYCLE_1) | instskip(SKIP_3) | instid1(SALU_CYCLE_1)
	s_cmp_lg_u32 s3, 0
	s_cselect_b32 s9, s14, s17
	s_cselect_b32 s8, s12, s16
	s_xor_b64 s[6:7], 0, s[6:7]
	s_xor_b64 s[8:9], s[8:9], s[6:7]
	s_delay_alu instid0(SALU_CYCLE_1)
	s_sub_nc_u64 s[6:7], s[8:9], s[6:7]
	s_and_not1_b32 vcc_lo, exec_lo, s5
	s_cbranch_vccnz .LBB30_3
.LBB30_2:
	v_cvt_f32_u32_e32 v2, s2
	s_sub_co_i32 s5, 0, s2
	s_delay_alu instid0(VALU_DEP_1) | instskip(SKIP_1) | instid1(TRANS32_DEP_1)
	v_rcp_iflag_f32_e32 v2, v2
	v_nop
	v_mul_f32_e32 v2, 0x4f7ffffe, v2
	s_delay_alu instid0(VALU_DEP_1) | instskip(NEXT) | instid1(VALU_DEP_1)
	v_cvt_u32_f32_e32 v2, v2
	v_readfirstlane_b32 s3, v2
	s_mul_i32 s5, s5, s3
	s_delay_alu instid0(SALU_CYCLE_1) | instskip(NEXT) | instid1(SALU_CYCLE_1)
	s_mul_hi_u32 s5, s3, s5
	s_add_co_i32 s3, s3, s5
	s_delay_alu instid0(SALU_CYCLE_1) | instskip(NEXT) | instid1(SALU_CYCLE_1)
	s_mul_hi_u32 s3, s4, s3
	s_mul_i32 s5, s3, s2
	s_add_co_i32 s6, s3, 1
	s_sub_co_i32 s5, s4, s5
	s_delay_alu instid0(SALU_CYCLE_1)
	s_sub_co_i32 s7, s5, s2
	s_cmp_ge_u32 s5, s2
	s_cselect_b32 s3, s6, s3
	s_cselect_b32 s5, s7, s5
	s_add_co_i32 s6, s3, 1
	s_cmp_ge_u32 s5, s2
	s_mov_b32 s7, 0
	s_cselect_b32 s6, s6, s3
.LBB30_3:
	s_bfe_u32 s3, ttmp6, 0x40010
	s_and_b32 s5, ttmp7, 0xffff
	s_add_co_i32 s3, s3, 1
	s_bfe_u32 s8, ttmp6, 0x40004
	s_mul_i32 s3, s5, s3
	s_wait_loadcnt 0x0
	v_and_b32_e32 v1, 0xffff, v1
	s_add_co_i32 s3, s8, s3
	v_bfe_u32 v2, v0, 10, 10
	s_cmp_eq_u32 s10, 0
	s_load_b64 s[8:9], s[0:1], 0x80
	s_cselect_b32 s3, s5, s3
	s_delay_alu instid0(VALU_DEP_1) | instid1(SALU_CYCLE_1)
	v_mad_u32 v2, s3, v1, v2
	s_mov_b32 s3, exec_lo
	s_delay_alu instid0(VALU_DEP_1) | instskip(SKIP_1) | instid1(VALU_DEP_1)
	v_ashrrev_i32_e32 v3, 31, v2
	s_wait_kmcnt 0x0
	v_cmpx_gt_i64_e64 s[8:9], v[2:3]
	s_cbranch_execz .LBB30_6
; %bb.4:
	s_add_nc_u64 s[8:9], s[0:1], 0xb8
	s_bfe_u32 s5, ttmp6, 0x4000c
	s_load_b32 s3, s[8:9], 0xc
	s_add_co_i32 s5, s5, 1
	s_wait_xcnt 0x0
	s_and_b32 s8, ttmp6, 15
	s_mul_i32 s5, ttmp9, s5
	v_and_b32_e32 v0, 0x3ff, v0
	s_add_co_i32 s5, s8, s5
	s_load_b64 s[8:9], s[0:1], 0x88
	s_wait_kmcnt 0x0
	s_and_b32 s3, s3, 0xffff
	s_cmp_eq_u32 s10, 0
	s_cselect_b32 s5, ttmp9, s5
	s_delay_alu instid0(SALU_CYCLE_1) | instskip(NEXT) | instid1(VALU_DEP_1)
	v_mad_u32 v0, s5, s3, v0
	v_ashrrev_i32_e32 v1, 31, v0
	s_delay_alu instid0(VALU_DEP_1)
	v_cmp_gt_i64_e32 vcc_lo, s[8:9], v[0:1]
	s_and_b32 exec_lo, exec_lo, vcc_lo
	s_cbranch_execz .LBB30_6
; %bb.5:
	s_load_b256 s[8:15], s[0:1], 0x48
	s_mul_i32 s5, s6, s2
	s_bfe_i64 s[2:3], s[6:7], 0x200000
	s_wait_kmcnt 0x0
	v_mul_u64_e32 v[4:5], s[12:13], v[2:3]
	v_mul_u64_e32 v[6:7], s[14:15], v[0:1]
	s_load_b64 s[12:13], s[0:1], 0x20
	s_sub_co_i32 s14, s4, s5
	s_mul_u64 s[4:5], s[8:9], s[2:3]
	s_ashr_i32 s15, s14, 31
	s_lshl_b64 s[4:5], s[4:5], 3
	s_mul_u64 s[6:7], s[10:11], s[14:15]
	s_delay_alu instid0(SALU_CYCLE_1) | instskip(SKIP_2) | instid1(SALU_CYCLE_1)
	s_lshl_b64 s[6:7], s[6:7], 3
	s_wait_kmcnt 0x0
	s_add_nc_u64 s[4:5], s[12:13], s[4:5]
	s_add_nc_u64 s[4:5], s[4:5], s[6:7]
	s_delay_alu instid0(VALU_DEP_2) | instid1(SALU_CYCLE_1)
	v_lshl_add_u64 v[4:5], v[4:5], 3, s[4:5]
	s_load_b256 s[4:11], s[0:1], 0x0
	s_delay_alu instid0(VALU_DEP_1) | instskip(SKIP_3) | instid1(SALU_CYCLE_1)
	v_lshl_add_u64 v[4:5], v[6:7], 3, v[4:5]
	global_load_b64 v[4:5], v[4:5], off
	s_wait_kmcnt 0x0
	s_mul_u64 s[6:7], s[8:9], s[6:7]
	s_mul_u64 s[6:7], s[6:7], s[10:11]
	s_delay_alu instid0(SALU_CYCLE_1) | instskip(NEXT) | instid1(SALU_CYCLE_1)
	s_mul_u64 s[6:7], s[6:7], s[2:3]
	s_lshl_b64 s[6:7], s[6:7], 3
	s_delay_alu instid0(SALU_CYCLE_1)
	s_add_nc_u64 s[4:5], s[4:5], s[6:7]
	s_wait_loadcnt 0x0
	v_lshl_add_u64 v[4:5], v[4:5], 3, s[4:5]
	s_load_b256 s[4:11], s[0:1], 0x90
	global_load_b64 v[4:5], v[4:5], off
	s_load_b64 s[0:1], s[0:1], 0x68
	s_wait_kmcnt 0x0
	v_mul_u64_e32 v[2:3], s[8:9], v[2:3]
	v_mul_u64_e32 v[0:1], s[10:11], v[0:1]
	s_mul_u64 s[2:3], s[4:5], s[2:3]
	s_mul_u64 s[4:5], s[6:7], s[14:15]
	s_lshl_b64 s[2:3], s[2:3], 3
	s_delay_alu instid0(SALU_CYCLE_1) | instskip(SKIP_1) | instid1(SALU_CYCLE_1)
	s_add_nc_u64 s[0:1], s[0:1], s[2:3]
	s_lshl_b64 s[2:3], s[4:5], 3
	s_add_nc_u64 s[0:1], s[0:1], s[2:3]
	s_delay_alu instid0(VALU_DEP_2) | instid1(SALU_CYCLE_1)
	v_lshl_add_u64 v[2:3], v[2:3], 3, s[0:1]
	s_delay_alu instid0(VALU_DEP_1)
	v_lshl_add_u64 v[0:1], v[0:1], 3, v[2:3]
	s_wait_loadcnt 0x0
	global_store_b64 v[0:1], v[4:5], off
.LBB30_6:
	s_endpgm
.LBB30_7:
                                        ; implicit-def: $sgpr6_sgpr7
	s_branch .LBB30_2
	.section	.rodata,"a",@progbits
	.p2align	6, 0x0
	.amdhsa_kernel _ZN2at6native31max_unpooling3d_backward_kernelIlEEvPKT_lllN5torch10headeronly6detail27GenericPackedTensorAccessorINS7_14TensorAccessorIN3c108ArrayRefIlEElLm3ENS6_16DefaultPtrTraitsElEENS_6detail16IndexBoundsCheckILm4ElEElLm4ESD_lEENS8_INS9_ISC_S2_Lm3ESD_lEESH_S2_Lm4ESD_lEEi
		.amdhsa_group_segment_fixed_size 0
		.amdhsa_private_segment_fixed_size 0
		.amdhsa_kernarg_size 440
		.amdhsa_user_sgpr_count 2
		.amdhsa_user_sgpr_dispatch_ptr 0
		.amdhsa_user_sgpr_queue_ptr 0
		.amdhsa_user_sgpr_kernarg_segment_ptr 1
		.amdhsa_user_sgpr_dispatch_id 0
		.amdhsa_user_sgpr_kernarg_preload_length 0
		.amdhsa_user_sgpr_kernarg_preload_offset 0
		.amdhsa_user_sgpr_private_segment_size 0
		.amdhsa_wavefront_size32 1
		.amdhsa_uses_dynamic_stack 0
		.amdhsa_enable_private_segment 0
		.amdhsa_system_sgpr_workgroup_id_x 1
		.amdhsa_system_sgpr_workgroup_id_y 1
		.amdhsa_system_sgpr_workgroup_id_z 1
		.amdhsa_system_sgpr_workgroup_info 0
		.amdhsa_system_vgpr_workitem_id 1
		.amdhsa_next_free_vgpr 8
		.amdhsa_next_free_sgpr 25
		.amdhsa_named_barrier_count 0
		.amdhsa_reserve_vcc 1
		.amdhsa_float_round_mode_32 0
		.amdhsa_float_round_mode_16_64 0
		.amdhsa_float_denorm_mode_32 3
		.amdhsa_float_denorm_mode_16_64 3
		.amdhsa_fp16_overflow 0
		.amdhsa_memory_ordered 1
		.amdhsa_forward_progress 1
		.amdhsa_inst_pref_size 10
		.amdhsa_round_robin_scheduling 0
		.amdhsa_exception_fp_ieee_invalid_op 0
		.amdhsa_exception_fp_denorm_src 0
		.amdhsa_exception_fp_ieee_div_zero 0
		.amdhsa_exception_fp_ieee_overflow 0
		.amdhsa_exception_fp_ieee_underflow 0
		.amdhsa_exception_fp_ieee_inexact 0
		.amdhsa_exception_int_div_zero 0
	.end_amdhsa_kernel
	.section	.text._ZN2at6native31max_unpooling3d_backward_kernelIlEEvPKT_lllN5torch10headeronly6detail27GenericPackedTensorAccessorINS7_14TensorAccessorIN3c108ArrayRefIlEElLm3ENS6_16DefaultPtrTraitsElEENS_6detail16IndexBoundsCheckILm4ElEElLm4ESD_lEENS8_INS9_ISC_S2_Lm3ESD_lEESH_S2_Lm4ESD_lEEi,"axG",@progbits,_ZN2at6native31max_unpooling3d_backward_kernelIlEEvPKT_lllN5torch10headeronly6detail27GenericPackedTensorAccessorINS7_14TensorAccessorIN3c108ArrayRefIlEElLm3ENS6_16DefaultPtrTraitsElEENS_6detail16IndexBoundsCheckILm4ElEElLm4ESD_lEENS8_INS9_ISC_S2_Lm3ESD_lEESH_S2_Lm4ESD_lEEi,comdat
.Lfunc_end30:
	.size	_ZN2at6native31max_unpooling3d_backward_kernelIlEEvPKT_lllN5torch10headeronly6detail27GenericPackedTensorAccessorINS7_14TensorAccessorIN3c108ArrayRefIlEElLm3ENS6_16DefaultPtrTraitsElEENS_6detail16IndexBoundsCheckILm4ElEElLm4ESD_lEENS8_INS9_ISC_S2_Lm3ESD_lEESH_S2_Lm4ESD_lEEi, .Lfunc_end30-_ZN2at6native31max_unpooling3d_backward_kernelIlEEvPKT_lllN5torch10headeronly6detail27GenericPackedTensorAccessorINS7_14TensorAccessorIN3c108ArrayRefIlEElLm3ENS6_16DefaultPtrTraitsElEENS_6detail16IndexBoundsCheckILm4ElEElLm4ESD_lEENS8_INS9_ISC_S2_Lm3ESD_lEESH_S2_Lm4ESD_lEEi
                                        ; -- End function
	.set _ZN2at6native31max_unpooling3d_backward_kernelIlEEvPKT_lllN5torch10headeronly6detail27GenericPackedTensorAccessorINS7_14TensorAccessorIN3c108ArrayRefIlEElLm3ENS6_16DefaultPtrTraitsElEENS_6detail16IndexBoundsCheckILm4ElEElLm4ESD_lEENS8_INS9_ISC_S2_Lm3ESD_lEESH_S2_Lm4ESD_lEEi.num_vgpr, 8
	.set _ZN2at6native31max_unpooling3d_backward_kernelIlEEvPKT_lllN5torch10headeronly6detail27GenericPackedTensorAccessorINS7_14TensorAccessorIN3c108ArrayRefIlEElLm3ENS6_16DefaultPtrTraitsElEENS_6detail16IndexBoundsCheckILm4ElEElLm4ESD_lEENS8_INS9_ISC_S2_Lm3ESD_lEESH_S2_Lm4ESD_lEEi.num_agpr, 0
	.set _ZN2at6native31max_unpooling3d_backward_kernelIlEEvPKT_lllN5torch10headeronly6detail27GenericPackedTensorAccessorINS7_14TensorAccessorIN3c108ArrayRefIlEElLm3ENS6_16DefaultPtrTraitsElEENS_6detail16IndexBoundsCheckILm4ElEElLm4ESD_lEENS8_INS9_ISC_S2_Lm3ESD_lEESH_S2_Lm4ESD_lEEi.numbered_sgpr, 25
	.set _ZN2at6native31max_unpooling3d_backward_kernelIlEEvPKT_lllN5torch10headeronly6detail27GenericPackedTensorAccessorINS7_14TensorAccessorIN3c108ArrayRefIlEElLm3ENS6_16DefaultPtrTraitsElEENS_6detail16IndexBoundsCheckILm4ElEElLm4ESD_lEENS8_INS9_ISC_S2_Lm3ESD_lEESH_S2_Lm4ESD_lEEi.num_named_barrier, 0
	.set _ZN2at6native31max_unpooling3d_backward_kernelIlEEvPKT_lllN5torch10headeronly6detail27GenericPackedTensorAccessorINS7_14TensorAccessorIN3c108ArrayRefIlEElLm3ENS6_16DefaultPtrTraitsElEENS_6detail16IndexBoundsCheckILm4ElEElLm4ESD_lEENS8_INS9_ISC_S2_Lm3ESD_lEESH_S2_Lm4ESD_lEEi.private_seg_size, 0
	.set _ZN2at6native31max_unpooling3d_backward_kernelIlEEvPKT_lllN5torch10headeronly6detail27GenericPackedTensorAccessorINS7_14TensorAccessorIN3c108ArrayRefIlEElLm3ENS6_16DefaultPtrTraitsElEENS_6detail16IndexBoundsCheckILm4ElEElLm4ESD_lEENS8_INS9_ISC_S2_Lm3ESD_lEESH_S2_Lm4ESD_lEEi.uses_vcc, 1
	.set _ZN2at6native31max_unpooling3d_backward_kernelIlEEvPKT_lllN5torch10headeronly6detail27GenericPackedTensorAccessorINS7_14TensorAccessorIN3c108ArrayRefIlEElLm3ENS6_16DefaultPtrTraitsElEENS_6detail16IndexBoundsCheckILm4ElEElLm4ESD_lEENS8_INS9_ISC_S2_Lm3ESD_lEESH_S2_Lm4ESD_lEEi.uses_flat_scratch, 0
	.set _ZN2at6native31max_unpooling3d_backward_kernelIlEEvPKT_lllN5torch10headeronly6detail27GenericPackedTensorAccessorINS7_14TensorAccessorIN3c108ArrayRefIlEElLm3ENS6_16DefaultPtrTraitsElEENS_6detail16IndexBoundsCheckILm4ElEElLm4ESD_lEENS8_INS9_ISC_S2_Lm3ESD_lEESH_S2_Lm4ESD_lEEi.has_dyn_sized_stack, 0
	.set _ZN2at6native31max_unpooling3d_backward_kernelIlEEvPKT_lllN5torch10headeronly6detail27GenericPackedTensorAccessorINS7_14TensorAccessorIN3c108ArrayRefIlEElLm3ENS6_16DefaultPtrTraitsElEENS_6detail16IndexBoundsCheckILm4ElEElLm4ESD_lEENS8_INS9_ISC_S2_Lm3ESD_lEESH_S2_Lm4ESD_lEEi.has_recursion, 0
	.set _ZN2at6native31max_unpooling3d_backward_kernelIlEEvPKT_lllN5torch10headeronly6detail27GenericPackedTensorAccessorINS7_14TensorAccessorIN3c108ArrayRefIlEElLm3ENS6_16DefaultPtrTraitsElEENS_6detail16IndexBoundsCheckILm4ElEElLm4ESD_lEENS8_INS9_ISC_S2_Lm3ESD_lEESH_S2_Lm4ESD_lEEi.has_indirect_call, 0
	.section	.AMDGPU.csdata,"",@progbits
; Kernel info:
; codeLenInByte = 1252
; TotalNumSgprs: 27
; NumVgprs: 8
; ScratchSize: 0
; MemoryBound: 0
; FloatMode: 240
; IeeeMode: 1
; LDSByteSize: 0 bytes/workgroup (compile time only)
; SGPRBlocks: 0
; VGPRBlocks: 0
; NumSGPRsForWavesPerEU: 27
; NumVGPRsForWavesPerEU: 8
; NamedBarCnt: 0
; Occupancy: 16
; WaveLimiterHint : 1
; COMPUTE_PGM_RSRC2:SCRATCH_EN: 0
; COMPUTE_PGM_RSRC2:USER_SGPR: 2
; COMPUTE_PGM_RSRC2:TRAP_HANDLER: 0
; COMPUTE_PGM_RSRC2:TGID_X_EN: 1
; COMPUTE_PGM_RSRC2:TGID_Y_EN: 1
; COMPUTE_PGM_RSRC2:TGID_Z_EN: 1
; COMPUTE_PGM_RSRC2:TIDIG_COMP_CNT: 1
	.section	.text._ZN2at6native31max_unpooling3d_backward_kernelIsEEvPKT_lllN5torch10headeronly6detail27GenericPackedTensorAccessorINS7_14TensorAccessorIN3c108ArrayRefIlEElLm3ENS6_16DefaultPtrTraitsElEENS_6detail16IndexBoundsCheckILm4ElEElLm4ESD_lEENS8_INS9_ISC_S2_Lm3ESD_lEESH_S2_Lm4ESD_lEEi,"axG",@progbits,_ZN2at6native31max_unpooling3d_backward_kernelIsEEvPKT_lllN5torch10headeronly6detail27GenericPackedTensorAccessorINS7_14TensorAccessorIN3c108ArrayRefIlEElLm3ENS6_16DefaultPtrTraitsElEENS_6detail16IndexBoundsCheckILm4ElEElLm4ESD_lEENS8_INS9_ISC_S2_Lm3ESD_lEESH_S2_Lm4ESD_lEEi,comdat
	.protected	_ZN2at6native31max_unpooling3d_backward_kernelIsEEvPKT_lllN5torch10headeronly6detail27GenericPackedTensorAccessorINS7_14TensorAccessorIN3c108ArrayRefIlEElLm3ENS6_16DefaultPtrTraitsElEENS_6detail16IndexBoundsCheckILm4ElEElLm4ESD_lEENS8_INS9_ISC_S2_Lm3ESD_lEESH_S2_Lm4ESD_lEEi ; -- Begin function _ZN2at6native31max_unpooling3d_backward_kernelIsEEvPKT_lllN5torch10headeronly6detail27GenericPackedTensorAccessorINS7_14TensorAccessorIN3c108ArrayRefIlEElLm3ENS6_16DefaultPtrTraitsElEENS_6detail16IndexBoundsCheckILm4ElEElLm4ESD_lEENS8_INS9_ISC_S2_Lm3ESD_lEESH_S2_Lm4ESD_lEEi
	.globl	_ZN2at6native31max_unpooling3d_backward_kernelIsEEvPKT_lllN5torch10headeronly6detail27GenericPackedTensorAccessorINS7_14TensorAccessorIN3c108ArrayRefIlEElLm3ENS6_16DefaultPtrTraitsElEENS_6detail16IndexBoundsCheckILm4ElEElLm4ESD_lEENS8_INS9_ISC_S2_Lm3ESD_lEESH_S2_Lm4ESD_lEEi
	.p2align	8
	.type	_ZN2at6native31max_unpooling3d_backward_kernelIsEEvPKT_lllN5torch10headeronly6detail27GenericPackedTensorAccessorINS7_14TensorAccessorIN3c108ArrayRefIlEElLm3ENS6_16DefaultPtrTraitsElEENS_6detail16IndexBoundsCheckILm4ElEElLm4ESD_lEENS8_INS9_ISC_S2_Lm3ESD_lEESH_S2_Lm4ESD_lEEi,@function
_ZN2at6native31max_unpooling3d_backward_kernelIsEEvPKT_lllN5torch10headeronly6detail27GenericPackedTensorAccessorINS7_14TensorAccessorIN3c108ArrayRefIlEElLm3ENS6_16DefaultPtrTraitsElEENS_6detail16IndexBoundsCheckILm4ElEElLm4ESD_lEENS8_INS9_ISC_S2_Lm3ESD_lEESH_S2_Lm4ESD_lEEi: ; @_ZN2at6native31max_unpooling3d_backward_kernelIsEEvPKT_lllN5torch10headeronly6detail27GenericPackedTensorAccessorINS7_14TensorAccessorIN3c108ArrayRefIlEElLm3ENS6_16DefaultPtrTraitsElEENS_6detail16IndexBoundsCheckILm4ElEElLm4ESD_lEENS8_INS9_ISC_S2_Lm3ESD_lEESH_S2_Lm4ESD_lEEi
; %bb.0:
	v_mov_b32_e32 v1, 0
	s_bfe_u32 s5, ttmp6, 0x40014
	s_lshr_b32 s6, ttmp7, 16
	s_add_co_i32 s5, s5, 1
	s_bfe_u32 s7, ttmp6, 0x40008
	global_load_u16 v1, v1, s[0:1] offset:198
	s_clause 0x1
	s_load_b64 s[2:3], s[0:1], 0x78
	s_load_b32 s4, s[0:1], 0xb0
	s_mul_i32 s5, s6, s5
	s_getreg_b32 s10, hwreg(HW_REG_IB_STS2, 6, 4)
	s_add_co_i32 s7, s7, s5
	s_cmp_eq_u32 s10, 0
	s_cselect_b32 s5, s6, s7
	s_wait_kmcnt 0x0
	s_and_b64 s[6:7], s[2:3], 0xffffffff00000000
	s_add_co_i32 s4, s4, s5
	s_cmp_lg_u64 s[6:7], 0
	s_mov_b32 s5, 0
	s_cbranch_scc0 .LBB31_7
; %bb.1:
	s_ashr_i32 s6, s3, 31
	s_mov_b32 s17, s5
	s_mov_b32 s7, s6
	;; [unrolled: 1-line block ×3, first 2 shown]
	s_add_nc_u64 s[8:9], s[2:3], s[6:7]
	s_delay_alu instid0(SALU_CYCLE_1) | instskip(NEXT) | instid1(SALU_CYCLE_1)
	s_xor_b64 s[8:9], s[8:9], s[6:7]
	s_cvt_f32_u32 s3, s8
	s_cvt_f32_u32 s11, s9
	s_sub_nc_u64 s[14:15], 0, s[8:9]
	s_delay_alu instid0(SALU_CYCLE_2) | instskip(NEXT) | instid1(SALU_CYCLE_3)
	s_fmamk_f32 s3, s11, 0x4f800000, s3
	v_s_rcp_f32 s3, s3
	s_delay_alu instid0(TRANS32_DEP_1) | instskip(NEXT) | instid1(SALU_CYCLE_3)
	s_mul_f32 s3, s3, 0x5f7ffffc
	s_mul_f32 s11, s3, 0x2f800000
	s_delay_alu instid0(SALU_CYCLE_3) | instskip(NEXT) | instid1(SALU_CYCLE_3)
	s_trunc_f32 s11, s11
	s_fmamk_f32 s3, s11, 0xcf800000, s3
	s_cvt_u32_f32 s13, s11
	s_delay_alu instid0(SALU_CYCLE_2) | instskip(NEXT) | instid1(SALU_CYCLE_3)
	s_cvt_u32_f32 s12, s3
	s_mul_u64 s[18:19], s[14:15], s[12:13]
	s_delay_alu instid0(SALU_CYCLE_1)
	s_mul_hi_u32 s23, s12, s19
	s_mul_i32 s22, s12, s19
	s_mul_hi_u32 s16, s12, s18
	s_mul_i32 s11, s13, s18
	s_add_nc_u64 s[16:17], s[16:17], s[22:23]
	s_mul_hi_u32 s3, s13, s18
	s_mul_hi_u32 s24, s13, s19
	s_add_co_u32 s11, s16, s11
	s_add_co_ci_u32 s20, s17, s3
	s_mul_i32 s18, s13, s19
	s_add_co_ci_u32 s19, s24, 0
	s_delay_alu instid0(SALU_CYCLE_1) | instskip(SKIP_3) | instid1(SALU_CYCLE_1)
	s_add_nc_u64 s[16:17], s[20:21], s[18:19]
	s_mov_b32 s19, s5
	s_add_co_u32 s12, s12, s16
	s_cselect_b32 s3, -1, 0
	s_cmp_lg_u32 s3, 0
	s_add_co_ci_u32 s13, s13, s17
	s_mov_b32 s17, s5
	s_mul_u64 s[14:15], s[14:15], s[12:13]
	s_delay_alu instid0(SALU_CYCLE_1)
	s_mul_hi_u32 s21, s12, s15
	s_mul_i32 s20, s12, s15
	s_mul_hi_u32 s16, s12, s14
	s_mul_i32 s11, s13, s14
	s_add_nc_u64 s[16:17], s[16:17], s[20:21]
	s_mul_hi_u32 s3, s13, s14
	s_mul_hi_u32 s22, s13, s15
	s_add_co_u32 s11, s16, s11
	s_add_co_ci_u32 s18, s17, s3
	s_mul_i32 s14, s13, s15
	s_add_co_ci_u32 s15, s22, 0
	s_add_nc_u64 s[16:17], s[4:5], 0
	s_add_nc_u64 s[14:15], s[18:19], s[14:15]
	s_delay_alu instid0(SALU_CYCLE_1) | instskip(SKIP_1) | instid1(SALU_CYCLE_1)
	s_add_co_u32 s3, s12, s14
	s_cselect_b32 s11, -1, 0
	s_cmp_lg_u32 s11, 0
	s_add_co_ci_u32 s11, s13, s15
	s_xor_b64 s[12:13], s[16:17], 0
	s_mov_b32 s15, s5
	s_mul_hi_u32 s17, s12, s11
	s_mul_i32 s16, s12, s11
	s_mul_hi_u32 s18, s12, s3
	s_mul_hi_u32 s14, s13, s3
	s_mul_i32 s3, s13, s3
	s_add_nc_u64 s[16:17], s[18:19], s[16:17]
	s_mul_hi_u32 s20, s13, s11
	s_add_co_u32 s3, s16, s3
	s_add_co_ci_u32 s14, s17, s14
	s_mul_i32 s18, s13, s11
	s_add_co_ci_u32 s19, s20, 0
	s_delay_alu instid0(SALU_CYCLE_1) | instskip(NEXT) | instid1(SALU_CYCLE_1)
	s_add_nc_u64 s[14:15], s[14:15], s[18:19]
	s_and_b64 s[16:17], s[14:15], 0xffffffff00000000
	s_delay_alu instid0(SALU_CYCLE_1) | instskip(NEXT) | instid1(SALU_CYCLE_1)
	s_or_b32 s16, s16, s14
	s_mul_u64 s[14:15], s[8:9], s[16:17]
	s_delay_alu instid0(SALU_CYCLE_1)
	s_sub_co_u32 s3, s12, s14
	s_cselect_b32 s11, -1, 0
	s_sub_co_i32 s12, s13, s15
	s_cmp_lg_u32 s11, 0
	s_sub_co_ci_u32 s12, s12, s9
	s_sub_co_u32 s14, s3, s8
	s_cselect_b32 s18, -1, 0
	s_delay_alu instid0(SALU_CYCLE_1) | instskip(SKIP_2) | instid1(SALU_CYCLE_1)
	s_cmp_lg_u32 s18, 0
	s_add_nc_u64 s[18:19], s[16:17], 1
	s_sub_co_ci_u32 s12, s12, 0
	s_cmp_ge_u32 s12, s9
	s_cselect_b32 s20, -1, 0
	s_cmp_ge_u32 s14, s8
	s_cselect_b32 s14, -1, 0
	s_cmp_eq_u32 s12, s9
	s_cselect_b32 s12, s14, s20
	s_add_nc_u64 s[20:21], s[16:17], 2
	s_cmp_lg_u32 s12, 0
	s_cselect_b32 s12, s20, s18
	s_cselect_b32 s14, s21, s19
	s_cmp_lg_u32 s11, 0
	s_sub_co_ci_u32 s11, s13, s15
	s_delay_alu instid0(SALU_CYCLE_1)
	s_cmp_ge_u32 s11, s9
	s_cselect_b32 s13, -1, 0
	s_cmp_ge_u32 s3, s8
	s_cselect_b32 s3, -1, 0
	s_cmp_eq_u32 s11, s9
	s_cselect_b32 s3, s3, s13
	s_delay_alu instid0(SALU_CYCLE_1) | instskip(SKIP_3) | instid1(SALU_CYCLE_1)
	s_cmp_lg_u32 s3, 0
	s_cselect_b32 s9, s14, s17
	s_cselect_b32 s8, s12, s16
	s_xor_b64 s[6:7], 0, s[6:7]
	s_xor_b64 s[8:9], s[8:9], s[6:7]
	s_delay_alu instid0(SALU_CYCLE_1)
	s_sub_nc_u64 s[6:7], s[8:9], s[6:7]
	s_and_not1_b32 vcc_lo, exec_lo, s5
	s_cbranch_vccnz .LBB31_3
.LBB31_2:
	v_cvt_f32_u32_e32 v2, s2
	s_sub_co_i32 s5, 0, s2
	s_delay_alu instid0(VALU_DEP_1) | instskip(SKIP_1) | instid1(TRANS32_DEP_1)
	v_rcp_iflag_f32_e32 v2, v2
	v_nop
	v_mul_f32_e32 v2, 0x4f7ffffe, v2
	s_delay_alu instid0(VALU_DEP_1) | instskip(NEXT) | instid1(VALU_DEP_1)
	v_cvt_u32_f32_e32 v2, v2
	v_readfirstlane_b32 s3, v2
	s_mul_i32 s5, s5, s3
	s_delay_alu instid0(SALU_CYCLE_1) | instskip(NEXT) | instid1(SALU_CYCLE_1)
	s_mul_hi_u32 s5, s3, s5
	s_add_co_i32 s3, s3, s5
	s_delay_alu instid0(SALU_CYCLE_1) | instskip(NEXT) | instid1(SALU_CYCLE_1)
	s_mul_hi_u32 s3, s4, s3
	s_mul_i32 s5, s3, s2
	s_add_co_i32 s6, s3, 1
	s_sub_co_i32 s5, s4, s5
	s_delay_alu instid0(SALU_CYCLE_1)
	s_sub_co_i32 s7, s5, s2
	s_cmp_ge_u32 s5, s2
	s_cselect_b32 s3, s6, s3
	s_cselect_b32 s5, s7, s5
	s_add_co_i32 s6, s3, 1
	s_cmp_ge_u32 s5, s2
	s_mov_b32 s7, 0
	s_cselect_b32 s6, s6, s3
.LBB31_3:
	s_bfe_u32 s3, ttmp6, 0x40010
	s_and_b32 s5, ttmp7, 0xffff
	s_add_co_i32 s3, s3, 1
	s_bfe_u32 s8, ttmp6, 0x40004
	s_mul_i32 s3, s5, s3
	s_wait_loadcnt 0x0
	v_and_b32_e32 v1, 0xffff, v1
	s_add_co_i32 s3, s8, s3
	v_bfe_u32 v2, v0, 10, 10
	s_cmp_eq_u32 s10, 0
	s_load_b64 s[8:9], s[0:1], 0x80
	s_cselect_b32 s3, s5, s3
	s_delay_alu instid0(VALU_DEP_1) | instid1(SALU_CYCLE_1)
	v_mad_u32 v2, s3, v1, v2
	s_mov_b32 s3, exec_lo
	s_delay_alu instid0(VALU_DEP_1) | instskip(SKIP_1) | instid1(VALU_DEP_1)
	v_ashrrev_i32_e32 v3, 31, v2
	s_wait_kmcnt 0x0
	v_cmpx_gt_i64_e64 s[8:9], v[2:3]
	s_cbranch_execz .LBB31_6
; %bb.4:
	s_add_nc_u64 s[8:9], s[0:1], 0xb8
	s_bfe_u32 s5, ttmp6, 0x4000c
	s_load_b32 s3, s[8:9], 0xc
	s_add_co_i32 s5, s5, 1
	s_wait_xcnt 0x0
	s_and_b32 s8, ttmp6, 15
	s_mul_i32 s5, ttmp9, s5
	v_and_b32_e32 v0, 0x3ff, v0
	s_add_co_i32 s5, s8, s5
	s_load_b64 s[8:9], s[0:1], 0x88
	s_wait_kmcnt 0x0
	s_and_b32 s3, s3, 0xffff
	s_cmp_eq_u32 s10, 0
	s_cselect_b32 s5, ttmp9, s5
	s_delay_alu instid0(SALU_CYCLE_1) | instskip(NEXT) | instid1(VALU_DEP_1)
	v_mad_u32 v0, s5, s3, v0
	v_ashrrev_i32_e32 v1, 31, v0
	s_delay_alu instid0(VALU_DEP_1)
	v_cmp_gt_i64_e32 vcc_lo, s[8:9], v[0:1]
	s_and_b32 exec_lo, exec_lo, vcc_lo
	s_cbranch_execz .LBB31_6
; %bb.5:
	s_load_b256 s[8:15], s[0:1], 0x48
	s_mul_i32 s5, s6, s2
	s_bfe_i64 s[2:3], s[6:7], 0x200000
	s_wait_kmcnt 0x0
	v_mul_u64_e32 v[4:5], s[12:13], v[2:3]
	v_mul_u64_e32 v[6:7], s[14:15], v[0:1]
	s_load_b64 s[12:13], s[0:1], 0x20
	s_sub_co_i32 s14, s4, s5
	s_mul_u64 s[4:5], s[8:9], s[2:3]
	s_ashr_i32 s15, s14, 31
	s_lshl_b64 s[4:5], s[4:5], 3
	s_mul_u64 s[6:7], s[10:11], s[14:15]
	s_delay_alu instid0(SALU_CYCLE_1) | instskip(SKIP_2) | instid1(SALU_CYCLE_1)
	s_lshl_b64 s[6:7], s[6:7], 3
	s_wait_kmcnt 0x0
	s_add_nc_u64 s[4:5], s[12:13], s[4:5]
	s_add_nc_u64 s[4:5], s[4:5], s[6:7]
	s_delay_alu instid0(VALU_DEP_2) | instid1(SALU_CYCLE_1)
	v_lshl_add_u64 v[4:5], v[4:5], 3, s[4:5]
	s_load_b256 s[4:11], s[0:1], 0x0
	s_delay_alu instid0(VALU_DEP_1) | instskip(SKIP_3) | instid1(SALU_CYCLE_1)
	v_lshl_add_u64 v[4:5], v[6:7], 3, v[4:5]
	global_load_b64 v[4:5], v[4:5], off
	s_wait_kmcnt 0x0
	s_mul_u64 s[6:7], s[8:9], s[6:7]
	s_mul_u64 s[6:7], s[6:7], s[10:11]
	s_delay_alu instid0(SALU_CYCLE_1) | instskip(NEXT) | instid1(SALU_CYCLE_1)
	s_mul_u64 s[6:7], s[6:7], s[2:3]
	s_lshl_b64 s[6:7], s[6:7], 1
	s_delay_alu instid0(SALU_CYCLE_1)
	s_add_nc_u64 s[4:5], s[4:5], s[6:7]
	s_wait_loadcnt 0x0
	v_lshl_add_u64 v[4:5], v[4:5], 1, s[4:5]
	s_load_b256 s[4:11], s[0:1], 0x90
	global_load_u16 v4, v[4:5], off
	s_load_b64 s[0:1], s[0:1], 0x68
	s_wait_kmcnt 0x0
	v_mul_u64_e32 v[2:3], s[8:9], v[2:3]
	v_mul_u64_e32 v[0:1], s[10:11], v[0:1]
	s_mul_u64 s[2:3], s[4:5], s[2:3]
	s_mul_u64 s[4:5], s[6:7], s[14:15]
	s_lshl_b64 s[2:3], s[2:3], 1
	s_delay_alu instid0(SALU_CYCLE_1) | instskip(SKIP_1) | instid1(SALU_CYCLE_1)
	s_add_nc_u64 s[0:1], s[0:1], s[2:3]
	s_lshl_b64 s[2:3], s[4:5], 1
	s_add_nc_u64 s[0:1], s[0:1], s[2:3]
	s_delay_alu instid0(VALU_DEP_2) | instid1(SALU_CYCLE_1)
	v_lshl_add_u64 v[2:3], v[2:3], 1, s[0:1]
	s_delay_alu instid0(VALU_DEP_1)
	v_lshl_add_u64 v[0:1], v[0:1], 1, v[2:3]
	s_wait_loadcnt 0x0
	global_store_b16 v[0:1], v4, off
.LBB31_6:
	s_endpgm
.LBB31_7:
                                        ; implicit-def: $sgpr6_sgpr7
	s_branch .LBB31_2
	.section	.rodata,"a",@progbits
	.p2align	6, 0x0
	.amdhsa_kernel _ZN2at6native31max_unpooling3d_backward_kernelIsEEvPKT_lllN5torch10headeronly6detail27GenericPackedTensorAccessorINS7_14TensorAccessorIN3c108ArrayRefIlEElLm3ENS6_16DefaultPtrTraitsElEENS_6detail16IndexBoundsCheckILm4ElEElLm4ESD_lEENS8_INS9_ISC_S2_Lm3ESD_lEESH_S2_Lm4ESD_lEEi
		.amdhsa_group_segment_fixed_size 0
		.amdhsa_private_segment_fixed_size 0
		.amdhsa_kernarg_size 440
		.amdhsa_user_sgpr_count 2
		.amdhsa_user_sgpr_dispatch_ptr 0
		.amdhsa_user_sgpr_queue_ptr 0
		.amdhsa_user_sgpr_kernarg_segment_ptr 1
		.amdhsa_user_sgpr_dispatch_id 0
		.amdhsa_user_sgpr_kernarg_preload_length 0
		.amdhsa_user_sgpr_kernarg_preload_offset 0
		.amdhsa_user_sgpr_private_segment_size 0
		.amdhsa_wavefront_size32 1
		.amdhsa_uses_dynamic_stack 0
		.amdhsa_enable_private_segment 0
		.amdhsa_system_sgpr_workgroup_id_x 1
		.amdhsa_system_sgpr_workgroup_id_y 1
		.amdhsa_system_sgpr_workgroup_id_z 1
		.amdhsa_system_sgpr_workgroup_info 0
		.amdhsa_system_vgpr_workitem_id 1
		.amdhsa_next_free_vgpr 8
		.amdhsa_next_free_sgpr 25
		.amdhsa_named_barrier_count 0
		.amdhsa_reserve_vcc 1
		.amdhsa_float_round_mode_32 0
		.amdhsa_float_round_mode_16_64 0
		.amdhsa_float_denorm_mode_32 3
		.amdhsa_float_denorm_mode_16_64 3
		.amdhsa_fp16_overflow 0
		.amdhsa_memory_ordered 1
		.amdhsa_forward_progress 1
		.amdhsa_inst_pref_size 10
		.amdhsa_round_robin_scheduling 0
		.amdhsa_exception_fp_ieee_invalid_op 0
		.amdhsa_exception_fp_denorm_src 0
		.amdhsa_exception_fp_ieee_div_zero 0
		.amdhsa_exception_fp_ieee_overflow 0
		.amdhsa_exception_fp_ieee_underflow 0
		.amdhsa_exception_fp_ieee_inexact 0
		.amdhsa_exception_int_div_zero 0
	.end_amdhsa_kernel
	.section	.text._ZN2at6native31max_unpooling3d_backward_kernelIsEEvPKT_lllN5torch10headeronly6detail27GenericPackedTensorAccessorINS7_14TensorAccessorIN3c108ArrayRefIlEElLm3ENS6_16DefaultPtrTraitsElEENS_6detail16IndexBoundsCheckILm4ElEElLm4ESD_lEENS8_INS9_ISC_S2_Lm3ESD_lEESH_S2_Lm4ESD_lEEi,"axG",@progbits,_ZN2at6native31max_unpooling3d_backward_kernelIsEEvPKT_lllN5torch10headeronly6detail27GenericPackedTensorAccessorINS7_14TensorAccessorIN3c108ArrayRefIlEElLm3ENS6_16DefaultPtrTraitsElEENS_6detail16IndexBoundsCheckILm4ElEElLm4ESD_lEENS8_INS9_ISC_S2_Lm3ESD_lEESH_S2_Lm4ESD_lEEi,comdat
.Lfunc_end31:
	.size	_ZN2at6native31max_unpooling3d_backward_kernelIsEEvPKT_lllN5torch10headeronly6detail27GenericPackedTensorAccessorINS7_14TensorAccessorIN3c108ArrayRefIlEElLm3ENS6_16DefaultPtrTraitsElEENS_6detail16IndexBoundsCheckILm4ElEElLm4ESD_lEENS8_INS9_ISC_S2_Lm3ESD_lEESH_S2_Lm4ESD_lEEi, .Lfunc_end31-_ZN2at6native31max_unpooling3d_backward_kernelIsEEvPKT_lllN5torch10headeronly6detail27GenericPackedTensorAccessorINS7_14TensorAccessorIN3c108ArrayRefIlEElLm3ENS6_16DefaultPtrTraitsElEENS_6detail16IndexBoundsCheckILm4ElEElLm4ESD_lEENS8_INS9_ISC_S2_Lm3ESD_lEESH_S2_Lm4ESD_lEEi
                                        ; -- End function
	.set _ZN2at6native31max_unpooling3d_backward_kernelIsEEvPKT_lllN5torch10headeronly6detail27GenericPackedTensorAccessorINS7_14TensorAccessorIN3c108ArrayRefIlEElLm3ENS6_16DefaultPtrTraitsElEENS_6detail16IndexBoundsCheckILm4ElEElLm4ESD_lEENS8_INS9_ISC_S2_Lm3ESD_lEESH_S2_Lm4ESD_lEEi.num_vgpr, 8
	.set _ZN2at6native31max_unpooling3d_backward_kernelIsEEvPKT_lllN5torch10headeronly6detail27GenericPackedTensorAccessorINS7_14TensorAccessorIN3c108ArrayRefIlEElLm3ENS6_16DefaultPtrTraitsElEENS_6detail16IndexBoundsCheckILm4ElEElLm4ESD_lEENS8_INS9_ISC_S2_Lm3ESD_lEESH_S2_Lm4ESD_lEEi.num_agpr, 0
	.set _ZN2at6native31max_unpooling3d_backward_kernelIsEEvPKT_lllN5torch10headeronly6detail27GenericPackedTensorAccessorINS7_14TensorAccessorIN3c108ArrayRefIlEElLm3ENS6_16DefaultPtrTraitsElEENS_6detail16IndexBoundsCheckILm4ElEElLm4ESD_lEENS8_INS9_ISC_S2_Lm3ESD_lEESH_S2_Lm4ESD_lEEi.numbered_sgpr, 25
	.set _ZN2at6native31max_unpooling3d_backward_kernelIsEEvPKT_lllN5torch10headeronly6detail27GenericPackedTensorAccessorINS7_14TensorAccessorIN3c108ArrayRefIlEElLm3ENS6_16DefaultPtrTraitsElEENS_6detail16IndexBoundsCheckILm4ElEElLm4ESD_lEENS8_INS9_ISC_S2_Lm3ESD_lEESH_S2_Lm4ESD_lEEi.num_named_barrier, 0
	.set _ZN2at6native31max_unpooling3d_backward_kernelIsEEvPKT_lllN5torch10headeronly6detail27GenericPackedTensorAccessorINS7_14TensorAccessorIN3c108ArrayRefIlEElLm3ENS6_16DefaultPtrTraitsElEENS_6detail16IndexBoundsCheckILm4ElEElLm4ESD_lEENS8_INS9_ISC_S2_Lm3ESD_lEESH_S2_Lm4ESD_lEEi.private_seg_size, 0
	.set _ZN2at6native31max_unpooling3d_backward_kernelIsEEvPKT_lllN5torch10headeronly6detail27GenericPackedTensorAccessorINS7_14TensorAccessorIN3c108ArrayRefIlEElLm3ENS6_16DefaultPtrTraitsElEENS_6detail16IndexBoundsCheckILm4ElEElLm4ESD_lEENS8_INS9_ISC_S2_Lm3ESD_lEESH_S2_Lm4ESD_lEEi.uses_vcc, 1
	.set _ZN2at6native31max_unpooling3d_backward_kernelIsEEvPKT_lllN5torch10headeronly6detail27GenericPackedTensorAccessorINS7_14TensorAccessorIN3c108ArrayRefIlEElLm3ENS6_16DefaultPtrTraitsElEENS_6detail16IndexBoundsCheckILm4ElEElLm4ESD_lEENS8_INS9_ISC_S2_Lm3ESD_lEESH_S2_Lm4ESD_lEEi.uses_flat_scratch, 0
	.set _ZN2at6native31max_unpooling3d_backward_kernelIsEEvPKT_lllN5torch10headeronly6detail27GenericPackedTensorAccessorINS7_14TensorAccessorIN3c108ArrayRefIlEElLm3ENS6_16DefaultPtrTraitsElEENS_6detail16IndexBoundsCheckILm4ElEElLm4ESD_lEENS8_INS9_ISC_S2_Lm3ESD_lEESH_S2_Lm4ESD_lEEi.has_dyn_sized_stack, 0
	.set _ZN2at6native31max_unpooling3d_backward_kernelIsEEvPKT_lllN5torch10headeronly6detail27GenericPackedTensorAccessorINS7_14TensorAccessorIN3c108ArrayRefIlEElLm3ENS6_16DefaultPtrTraitsElEENS_6detail16IndexBoundsCheckILm4ElEElLm4ESD_lEENS8_INS9_ISC_S2_Lm3ESD_lEESH_S2_Lm4ESD_lEEi.has_recursion, 0
	.set _ZN2at6native31max_unpooling3d_backward_kernelIsEEvPKT_lllN5torch10headeronly6detail27GenericPackedTensorAccessorINS7_14TensorAccessorIN3c108ArrayRefIlEElLm3ENS6_16DefaultPtrTraitsElEENS_6detail16IndexBoundsCheckILm4ElEElLm4ESD_lEENS8_INS9_ISC_S2_Lm3ESD_lEESH_S2_Lm4ESD_lEEi.has_indirect_call, 0
	.section	.AMDGPU.csdata,"",@progbits
; Kernel info:
; codeLenInByte = 1252
; TotalNumSgprs: 27
; NumVgprs: 8
; ScratchSize: 0
; MemoryBound: 0
; FloatMode: 240
; IeeeMode: 1
; LDSByteSize: 0 bytes/workgroup (compile time only)
; SGPRBlocks: 0
; VGPRBlocks: 0
; NumSGPRsForWavesPerEU: 27
; NumVGPRsForWavesPerEU: 8
; NamedBarCnt: 0
; Occupancy: 16
; WaveLimiterHint : 1
; COMPUTE_PGM_RSRC2:SCRATCH_EN: 0
; COMPUTE_PGM_RSRC2:USER_SGPR: 2
; COMPUTE_PGM_RSRC2:TRAP_HANDLER: 0
; COMPUTE_PGM_RSRC2:TGID_X_EN: 1
; COMPUTE_PGM_RSRC2:TGID_Y_EN: 1
; COMPUTE_PGM_RSRC2:TGID_Z_EN: 1
; COMPUTE_PGM_RSRC2:TIDIG_COMP_CNT: 1
	.section	.text._ZN2at6native31max_unpooling3d_backward_kernelIdEEvPKT_lllN5torch10headeronly6detail27GenericPackedTensorAccessorINS7_14TensorAccessorIN3c108ArrayRefIlEElLm3ENS6_16DefaultPtrTraitsElEENS_6detail16IndexBoundsCheckILm4ElEElLm4ESD_lEENS8_INS9_ISC_S2_Lm3ESD_lEESH_S2_Lm4ESD_lEEi,"axG",@progbits,_ZN2at6native31max_unpooling3d_backward_kernelIdEEvPKT_lllN5torch10headeronly6detail27GenericPackedTensorAccessorINS7_14TensorAccessorIN3c108ArrayRefIlEElLm3ENS6_16DefaultPtrTraitsElEENS_6detail16IndexBoundsCheckILm4ElEElLm4ESD_lEENS8_INS9_ISC_S2_Lm3ESD_lEESH_S2_Lm4ESD_lEEi,comdat
	.protected	_ZN2at6native31max_unpooling3d_backward_kernelIdEEvPKT_lllN5torch10headeronly6detail27GenericPackedTensorAccessorINS7_14TensorAccessorIN3c108ArrayRefIlEElLm3ENS6_16DefaultPtrTraitsElEENS_6detail16IndexBoundsCheckILm4ElEElLm4ESD_lEENS8_INS9_ISC_S2_Lm3ESD_lEESH_S2_Lm4ESD_lEEi ; -- Begin function _ZN2at6native31max_unpooling3d_backward_kernelIdEEvPKT_lllN5torch10headeronly6detail27GenericPackedTensorAccessorINS7_14TensorAccessorIN3c108ArrayRefIlEElLm3ENS6_16DefaultPtrTraitsElEENS_6detail16IndexBoundsCheckILm4ElEElLm4ESD_lEENS8_INS9_ISC_S2_Lm3ESD_lEESH_S2_Lm4ESD_lEEi
	.globl	_ZN2at6native31max_unpooling3d_backward_kernelIdEEvPKT_lllN5torch10headeronly6detail27GenericPackedTensorAccessorINS7_14TensorAccessorIN3c108ArrayRefIlEElLm3ENS6_16DefaultPtrTraitsElEENS_6detail16IndexBoundsCheckILm4ElEElLm4ESD_lEENS8_INS9_ISC_S2_Lm3ESD_lEESH_S2_Lm4ESD_lEEi
	.p2align	8
	.type	_ZN2at6native31max_unpooling3d_backward_kernelIdEEvPKT_lllN5torch10headeronly6detail27GenericPackedTensorAccessorINS7_14TensorAccessorIN3c108ArrayRefIlEElLm3ENS6_16DefaultPtrTraitsElEENS_6detail16IndexBoundsCheckILm4ElEElLm4ESD_lEENS8_INS9_ISC_S2_Lm3ESD_lEESH_S2_Lm4ESD_lEEi,@function
_ZN2at6native31max_unpooling3d_backward_kernelIdEEvPKT_lllN5torch10headeronly6detail27GenericPackedTensorAccessorINS7_14TensorAccessorIN3c108ArrayRefIlEElLm3ENS6_16DefaultPtrTraitsElEENS_6detail16IndexBoundsCheckILm4ElEElLm4ESD_lEENS8_INS9_ISC_S2_Lm3ESD_lEESH_S2_Lm4ESD_lEEi: ; @_ZN2at6native31max_unpooling3d_backward_kernelIdEEvPKT_lllN5torch10headeronly6detail27GenericPackedTensorAccessorINS7_14TensorAccessorIN3c108ArrayRefIlEElLm3ENS6_16DefaultPtrTraitsElEENS_6detail16IndexBoundsCheckILm4ElEElLm4ESD_lEENS8_INS9_ISC_S2_Lm3ESD_lEESH_S2_Lm4ESD_lEEi
; %bb.0:
	v_mov_b32_e32 v1, 0
	s_bfe_u32 s5, ttmp6, 0x40014
	s_lshr_b32 s6, ttmp7, 16
	s_add_co_i32 s5, s5, 1
	s_bfe_u32 s7, ttmp6, 0x40008
	global_load_u16 v1, v1, s[0:1] offset:198
	s_clause 0x1
	s_load_b64 s[2:3], s[0:1], 0x78
	s_load_b32 s4, s[0:1], 0xb0
	s_mul_i32 s5, s6, s5
	s_getreg_b32 s10, hwreg(HW_REG_IB_STS2, 6, 4)
	s_add_co_i32 s7, s7, s5
	s_cmp_eq_u32 s10, 0
	s_cselect_b32 s5, s6, s7
	s_wait_kmcnt 0x0
	s_and_b64 s[6:7], s[2:3], 0xffffffff00000000
	s_add_co_i32 s4, s4, s5
	s_cmp_lg_u64 s[6:7], 0
	s_mov_b32 s5, 0
	s_cbranch_scc0 .LBB32_7
; %bb.1:
	s_ashr_i32 s6, s3, 31
	s_mov_b32 s17, s5
	s_mov_b32 s7, s6
	;; [unrolled: 1-line block ×3, first 2 shown]
	s_add_nc_u64 s[8:9], s[2:3], s[6:7]
	s_delay_alu instid0(SALU_CYCLE_1) | instskip(NEXT) | instid1(SALU_CYCLE_1)
	s_xor_b64 s[8:9], s[8:9], s[6:7]
	s_cvt_f32_u32 s3, s8
	s_cvt_f32_u32 s11, s9
	s_sub_nc_u64 s[14:15], 0, s[8:9]
	s_delay_alu instid0(SALU_CYCLE_2) | instskip(NEXT) | instid1(SALU_CYCLE_3)
	s_fmamk_f32 s3, s11, 0x4f800000, s3
	v_s_rcp_f32 s3, s3
	s_delay_alu instid0(TRANS32_DEP_1) | instskip(NEXT) | instid1(SALU_CYCLE_3)
	s_mul_f32 s3, s3, 0x5f7ffffc
	s_mul_f32 s11, s3, 0x2f800000
	s_delay_alu instid0(SALU_CYCLE_3) | instskip(NEXT) | instid1(SALU_CYCLE_3)
	s_trunc_f32 s11, s11
	s_fmamk_f32 s3, s11, 0xcf800000, s3
	s_cvt_u32_f32 s13, s11
	s_delay_alu instid0(SALU_CYCLE_2) | instskip(NEXT) | instid1(SALU_CYCLE_3)
	s_cvt_u32_f32 s12, s3
	s_mul_u64 s[18:19], s[14:15], s[12:13]
	s_delay_alu instid0(SALU_CYCLE_1)
	s_mul_hi_u32 s23, s12, s19
	s_mul_i32 s22, s12, s19
	s_mul_hi_u32 s16, s12, s18
	s_mul_i32 s11, s13, s18
	s_add_nc_u64 s[16:17], s[16:17], s[22:23]
	s_mul_hi_u32 s3, s13, s18
	s_mul_hi_u32 s24, s13, s19
	s_add_co_u32 s11, s16, s11
	s_add_co_ci_u32 s20, s17, s3
	s_mul_i32 s18, s13, s19
	s_add_co_ci_u32 s19, s24, 0
	s_delay_alu instid0(SALU_CYCLE_1) | instskip(SKIP_3) | instid1(SALU_CYCLE_1)
	s_add_nc_u64 s[16:17], s[20:21], s[18:19]
	s_mov_b32 s19, s5
	s_add_co_u32 s12, s12, s16
	s_cselect_b32 s3, -1, 0
	s_cmp_lg_u32 s3, 0
	s_add_co_ci_u32 s13, s13, s17
	s_mov_b32 s17, s5
	s_mul_u64 s[14:15], s[14:15], s[12:13]
	s_delay_alu instid0(SALU_CYCLE_1)
	s_mul_hi_u32 s21, s12, s15
	s_mul_i32 s20, s12, s15
	s_mul_hi_u32 s16, s12, s14
	s_mul_i32 s11, s13, s14
	s_add_nc_u64 s[16:17], s[16:17], s[20:21]
	s_mul_hi_u32 s3, s13, s14
	s_mul_hi_u32 s22, s13, s15
	s_add_co_u32 s11, s16, s11
	s_add_co_ci_u32 s18, s17, s3
	s_mul_i32 s14, s13, s15
	s_add_co_ci_u32 s15, s22, 0
	s_add_nc_u64 s[16:17], s[4:5], 0
	s_add_nc_u64 s[14:15], s[18:19], s[14:15]
	s_delay_alu instid0(SALU_CYCLE_1) | instskip(SKIP_1) | instid1(SALU_CYCLE_1)
	s_add_co_u32 s3, s12, s14
	s_cselect_b32 s11, -1, 0
	s_cmp_lg_u32 s11, 0
	s_add_co_ci_u32 s11, s13, s15
	s_xor_b64 s[12:13], s[16:17], 0
	s_mov_b32 s15, s5
	s_mul_hi_u32 s17, s12, s11
	s_mul_i32 s16, s12, s11
	s_mul_hi_u32 s18, s12, s3
	s_mul_hi_u32 s14, s13, s3
	s_mul_i32 s3, s13, s3
	s_add_nc_u64 s[16:17], s[18:19], s[16:17]
	s_mul_hi_u32 s20, s13, s11
	s_add_co_u32 s3, s16, s3
	s_add_co_ci_u32 s14, s17, s14
	s_mul_i32 s18, s13, s11
	s_add_co_ci_u32 s19, s20, 0
	s_delay_alu instid0(SALU_CYCLE_1) | instskip(NEXT) | instid1(SALU_CYCLE_1)
	s_add_nc_u64 s[14:15], s[14:15], s[18:19]
	s_and_b64 s[16:17], s[14:15], 0xffffffff00000000
	s_delay_alu instid0(SALU_CYCLE_1) | instskip(NEXT) | instid1(SALU_CYCLE_1)
	s_or_b32 s16, s16, s14
	s_mul_u64 s[14:15], s[8:9], s[16:17]
	s_delay_alu instid0(SALU_CYCLE_1)
	s_sub_co_u32 s3, s12, s14
	s_cselect_b32 s11, -1, 0
	s_sub_co_i32 s12, s13, s15
	s_cmp_lg_u32 s11, 0
	s_sub_co_ci_u32 s12, s12, s9
	s_sub_co_u32 s14, s3, s8
	s_cselect_b32 s18, -1, 0
	s_delay_alu instid0(SALU_CYCLE_1) | instskip(SKIP_2) | instid1(SALU_CYCLE_1)
	s_cmp_lg_u32 s18, 0
	s_add_nc_u64 s[18:19], s[16:17], 1
	s_sub_co_ci_u32 s12, s12, 0
	s_cmp_ge_u32 s12, s9
	s_cselect_b32 s20, -1, 0
	s_cmp_ge_u32 s14, s8
	s_cselect_b32 s14, -1, 0
	s_cmp_eq_u32 s12, s9
	s_cselect_b32 s12, s14, s20
	s_add_nc_u64 s[20:21], s[16:17], 2
	s_cmp_lg_u32 s12, 0
	s_cselect_b32 s12, s20, s18
	s_cselect_b32 s14, s21, s19
	s_cmp_lg_u32 s11, 0
	s_sub_co_ci_u32 s11, s13, s15
	s_delay_alu instid0(SALU_CYCLE_1)
	s_cmp_ge_u32 s11, s9
	s_cselect_b32 s13, -1, 0
	s_cmp_ge_u32 s3, s8
	s_cselect_b32 s3, -1, 0
	s_cmp_eq_u32 s11, s9
	s_cselect_b32 s3, s3, s13
	s_delay_alu instid0(SALU_CYCLE_1) | instskip(SKIP_3) | instid1(SALU_CYCLE_1)
	s_cmp_lg_u32 s3, 0
	s_cselect_b32 s9, s14, s17
	s_cselect_b32 s8, s12, s16
	s_xor_b64 s[6:7], 0, s[6:7]
	s_xor_b64 s[8:9], s[8:9], s[6:7]
	s_delay_alu instid0(SALU_CYCLE_1)
	s_sub_nc_u64 s[6:7], s[8:9], s[6:7]
	s_and_not1_b32 vcc_lo, exec_lo, s5
	s_cbranch_vccnz .LBB32_3
.LBB32_2:
	v_cvt_f32_u32_e32 v2, s2
	s_sub_co_i32 s5, 0, s2
	s_delay_alu instid0(VALU_DEP_1) | instskip(SKIP_1) | instid1(TRANS32_DEP_1)
	v_rcp_iflag_f32_e32 v2, v2
	v_nop
	v_mul_f32_e32 v2, 0x4f7ffffe, v2
	s_delay_alu instid0(VALU_DEP_1) | instskip(NEXT) | instid1(VALU_DEP_1)
	v_cvt_u32_f32_e32 v2, v2
	v_readfirstlane_b32 s3, v2
	s_mul_i32 s5, s5, s3
	s_delay_alu instid0(SALU_CYCLE_1) | instskip(NEXT) | instid1(SALU_CYCLE_1)
	s_mul_hi_u32 s5, s3, s5
	s_add_co_i32 s3, s3, s5
	s_delay_alu instid0(SALU_CYCLE_1) | instskip(NEXT) | instid1(SALU_CYCLE_1)
	s_mul_hi_u32 s3, s4, s3
	s_mul_i32 s5, s3, s2
	s_add_co_i32 s6, s3, 1
	s_sub_co_i32 s5, s4, s5
	s_delay_alu instid0(SALU_CYCLE_1)
	s_sub_co_i32 s7, s5, s2
	s_cmp_ge_u32 s5, s2
	s_cselect_b32 s3, s6, s3
	s_cselect_b32 s5, s7, s5
	s_add_co_i32 s6, s3, 1
	s_cmp_ge_u32 s5, s2
	s_mov_b32 s7, 0
	s_cselect_b32 s6, s6, s3
.LBB32_3:
	s_bfe_u32 s3, ttmp6, 0x40010
	s_and_b32 s5, ttmp7, 0xffff
	s_add_co_i32 s3, s3, 1
	s_bfe_u32 s8, ttmp6, 0x40004
	s_mul_i32 s3, s5, s3
	s_wait_loadcnt 0x0
	v_and_b32_e32 v1, 0xffff, v1
	s_add_co_i32 s3, s8, s3
	v_bfe_u32 v2, v0, 10, 10
	s_cmp_eq_u32 s10, 0
	s_load_b64 s[8:9], s[0:1], 0x80
	s_cselect_b32 s3, s5, s3
	s_delay_alu instid0(VALU_DEP_1) | instid1(SALU_CYCLE_1)
	v_mad_u32 v2, s3, v1, v2
	s_mov_b32 s3, exec_lo
	s_delay_alu instid0(VALU_DEP_1) | instskip(SKIP_1) | instid1(VALU_DEP_1)
	v_ashrrev_i32_e32 v3, 31, v2
	s_wait_kmcnt 0x0
	v_cmpx_gt_i64_e64 s[8:9], v[2:3]
	s_cbranch_execz .LBB32_6
; %bb.4:
	s_add_nc_u64 s[8:9], s[0:1], 0xb8
	s_bfe_u32 s5, ttmp6, 0x4000c
	s_load_b32 s3, s[8:9], 0xc
	s_add_co_i32 s5, s5, 1
	s_wait_xcnt 0x0
	s_and_b32 s8, ttmp6, 15
	s_mul_i32 s5, ttmp9, s5
	v_and_b32_e32 v0, 0x3ff, v0
	s_add_co_i32 s5, s8, s5
	s_load_b64 s[8:9], s[0:1], 0x88
	s_wait_kmcnt 0x0
	s_and_b32 s3, s3, 0xffff
	s_cmp_eq_u32 s10, 0
	s_cselect_b32 s5, ttmp9, s5
	s_delay_alu instid0(SALU_CYCLE_1) | instskip(NEXT) | instid1(VALU_DEP_1)
	v_mad_u32 v0, s5, s3, v0
	v_ashrrev_i32_e32 v1, 31, v0
	s_delay_alu instid0(VALU_DEP_1)
	v_cmp_gt_i64_e32 vcc_lo, s[8:9], v[0:1]
	s_and_b32 exec_lo, exec_lo, vcc_lo
	s_cbranch_execz .LBB32_6
; %bb.5:
	s_load_b256 s[8:15], s[0:1], 0x48
	s_mul_i32 s5, s6, s2
	s_bfe_i64 s[2:3], s[6:7], 0x200000
	s_wait_kmcnt 0x0
	v_mul_u64_e32 v[4:5], s[12:13], v[2:3]
	v_mul_u64_e32 v[6:7], s[14:15], v[0:1]
	s_load_b64 s[12:13], s[0:1], 0x20
	s_sub_co_i32 s14, s4, s5
	s_mul_u64 s[4:5], s[8:9], s[2:3]
	s_ashr_i32 s15, s14, 31
	s_lshl_b64 s[4:5], s[4:5], 3
	s_mul_u64 s[6:7], s[10:11], s[14:15]
	s_delay_alu instid0(SALU_CYCLE_1) | instskip(SKIP_2) | instid1(SALU_CYCLE_1)
	s_lshl_b64 s[6:7], s[6:7], 3
	s_wait_kmcnt 0x0
	s_add_nc_u64 s[4:5], s[12:13], s[4:5]
	s_add_nc_u64 s[4:5], s[4:5], s[6:7]
	s_delay_alu instid0(VALU_DEP_2) | instid1(SALU_CYCLE_1)
	v_lshl_add_u64 v[4:5], v[4:5], 3, s[4:5]
	s_load_b256 s[4:11], s[0:1], 0x0
	s_delay_alu instid0(VALU_DEP_1) | instskip(SKIP_3) | instid1(SALU_CYCLE_1)
	v_lshl_add_u64 v[4:5], v[6:7], 3, v[4:5]
	global_load_b64 v[4:5], v[4:5], off
	s_wait_kmcnt 0x0
	s_mul_u64 s[6:7], s[8:9], s[6:7]
	s_mul_u64 s[6:7], s[6:7], s[10:11]
	s_delay_alu instid0(SALU_CYCLE_1) | instskip(NEXT) | instid1(SALU_CYCLE_1)
	s_mul_u64 s[6:7], s[6:7], s[2:3]
	s_lshl_b64 s[6:7], s[6:7], 3
	s_delay_alu instid0(SALU_CYCLE_1)
	s_add_nc_u64 s[4:5], s[4:5], s[6:7]
	s_wait_loadcnt 0x0
	v_lshl_add_u64 v[4:5], v[4:5], 3, s[4:5]
	s_load_b256 s[4:11], s[0:1], 0x90
	global_load_b64 v[4:5], v[4:5], off
	s_load_b64 s[0:1], s[0:1], 0x68
	s_wait_kmcnt 0x0
	v_mul_u64_e32 v[2:3], s[8:9], v[2:3]
	v_mul_u64_e32 v[0:1], s[10:11], v[0:1]
	s_mul_u64 s[2:3], s[4:5], s[2:3]
	s_mul_u64 s[4:5], s[6:7], s[14:15]
	s_lshl_b64 s[2:3], s[2:3], 3
	s_delay_alu instid0(SALU_CYCLE_1) | instskip(SKIP_1) | instid1(SALU_CYCLE_1)
	s_add_nc_u64 s[0:1], s[0:1], s[2:3]
	s_lshl_b64 s[2:3], s[4:5], 3
	s_add_nc_u64 s[0:1], s[0:1], s[2:3]
	s_delay_alu instid0(VALU_DEP_2) | instid1(SALU_CYCLE_1)
	v_lshl_add_u64 v[2:3], v[2:3], 3, s[0:1]
	s_delay_alu instid0(VALU_DEP_1)
	v_lshl_add_u64 v[0:1], v[0:1], 3, v[2:3]
	s_wait_loadcnt 0x0
	global_store_b64 v[0:1], v[4:5], off
.LBB32_6:
	s_endpgm
.LBB32_7:
                                        ; implicit-def: $sgpr6_sgpr7
	s_branch .LBB32_2
	.section	.rodata,"a",@progbits
	.p2align	6, 0x0
	.amdhsa_kernel _ZN2at6native31max_unpooling3d_backward_kernelIdEEvPKT_lllN5torch10headeronly6detail27GenericPackedTensorAccessorINS7_14TensorAccessorIN3c108ArrayRefIlEElLm3ENS6_16DefaultPtrTraitsElEENS_6detail16IndexBoundsCheckILm4ElEElLm4ESD_lEENS8_INS9_ISC_S2_Lm3ESD_lEESH_S2_Lm4ESD_lEEi
		.amdhsa_group_segment_fixed_size 0
		.amdhsa_private_segment_fixed_size 0
		.amdhsa_kernarg_size 440
		.amdhsa_user_sgpr_count 2
		.amdhsa_user_sgpr_dispatch_ptr 0
		.amdhsa_user_sgpr_queue_ptr 0
		.amdhsa_user_sgpr_kernarg_segment_ptr 1
		.amdhsa_user_sgpr_dispatch_id 0
		.amdhsa_user_sgpr_kernarg_preload_length 0
		.amdhsa_user_sgpr_kernarg_preload_offset 0
		.amdhsa_user_sgpr_private_segment_size 0
		.amdhsa_wavefront_size32 1
		.amdhsa_uses_dynamic_stack 0
		.amdhsa_enable_private_segment 0
		.amdhsa_system_sgpr_workgroup_id_x 1
		.amdhsa_system_sgpr_workgroup_id_y 1
		.amdhsa_system_sgpr_workgroup_id_z 1
		.amdhsa_system_sgpr_workgroup_info 0
		.amdhsa_system_vgpr_workitem_id 1
		.amdhsa_next_free_vgpr 8
		.amdhsa_next_free_sgpr 25
		.amdhsa_named_barrier_count 0
		.amdhsa_reserve_vcc 1
		.amdhsa_float_round_mode_32 0
		.amdhsa_float_round_mode_16_64 0
		.amdhsa_float_denorm_mode_32 3
		.amdhsa_float_denorm_mode_16_64 3
		.amdhsa_fp16_overflow 0
		.amdhsa_memory_ordered 1
		.amdhsa_forward_progress 1
		.amdhsa_inst_pref_size 10
		.amdhsa_round_robin_scheduling 0
		.amdhsa_exception_fp_ieee_invalid_op 0
		.amdhsa_exception_fp_denorm_src 0
		.amdhsa_exception_fp_ieee_div_zero 0
		.amdhsa_exception_fp_ieee_overflow 0
		.amdhsa_exception_fp_ieee_underflow 0
		.amdhsa_exception_fp_ieee_inexact 0
		.amdhsa_exception_int_div_zero 0
	.end_amdhsa_kernel
	.section	.text._ZN2at6native31max_unpooling3d_backward_kernelIdEEvPKT_lllN5torch10headeronly6detail27GenericPackedTensorAccessorINS7_14TensorAccessorIN3c108ArrayRefIlEElLm3ENS6_16DefaultPtrTraitsElEENS_6detail16IndexBoundsCheckILm4ElEElLm4ESD_lEENS8_INS9_ISC_S2_Lm3ESD_lEESH_S2_Lm4ESD_lEEi,"axG",@progbits,_ZN2at6native31max_unpooling3d_backward_kernelIdEEvPKT_lllN5torch10headeronly6detail27GenericPackedTensorAccessorINS7_14TensorAccessorIN3c108ArrayRefIlEElLm3ENS6_16DefaultPtrTraitsElEENS_6detail16IndexBoundsCheckILm4ElEElLm4ESD_lEENS8_INS9_ISC_S2_Lm3ESD_lEESH_S2_Lm4ESD_lEEi,comdat
.Lfunc_end32:
	.size	_ZN2at6native31max_unpooling3d_backward_kernelIdEEvPKT_lllN5torch10headeronly6detail27GenericPackedTensorAccessorINS7_14TensorAccessorIN3c108ArrayRefIlEElLm3ENS6_16DefaultPtrTraitsElEENS_6detail16IndexBoundsCheckILm4ElEElLm4ESD_lEENS8_INS9_ISC_S2_Lm3ESD_lEESH_S2_Lm4ESD_lEEi, .Lfunc_end32-_ZN2at6native31max_unpooling3d_backward_kernelIdEEvPKT_lllN5torch10headeronly6detail27GenericPackedTensorAccessorINS7_14TensorAccessorIN3c108ArrayRefIlEElLm3ENS6_16DefaultPtrTraitsElEENS_6detail16IndexBoundsCheckILm4ElEElLm4ESD_lEENS8_INS9_ISC_S2_Lm3ESD_lEESH_S2_Lm4ESD_lEEi
                                        ; -- End function
	.set _ZN2at6native31max_unpooling3d_backward_kernelIdEEvPKT_lllN5torch10headeronly6detail27GenericPackedTensorAccessorINS7_14TensorAccessorIN3c108ArrayRefIlEElLm3ENS6_16DefaultPtrTraitsElEENS_6detail16IndexBoundsCheckILm4ElEElLm4ESD_lEENS8_INS9_ISC_S2_Lm3ESD_lEESH_S2_Lm4ESD_lEEi.num_vgpr, 8
	.set _ZN2at6native31max_unpooling3d_backward_kernelIdEEvPKT_lllN5torch10headeronly6detail27GenericPackedTensorAccessorINS7_14TensorAccessorIN3c108ArrayRefIlEElLm3ENS6_16DefaultPtrTraitsElEENS_6detail16IndexBoundsCheckILm4ElEElLm4ESD_lEENS8_INS9_ISC_S2_Lm3ESD_lEESH_S2_Lm4ESD_lEEi.num_agpr, 0
	.set _ZN2at6native31max_unpooling3d_backward_kernelIdEEvPKT_lllN5torch10headeronly6detail27GenericPackedTensorAccessorINS7_14TensorAccessorIN3c108ArrayRefIlEElLm3ENS6_16DefaultPtrTraitsElEENS_6detail16IndexBoundsCheckILm4ElEElLm4ESD_lEENS8_INS9_ISC_S2_Lm3ESD_lEESH_S2_Lm4ESD_lEEi.numbered_sgpr, 25
	.set _ZN2at6native31max_unpooling3d_backward_kernelIdEEvPKT_lllN5torch10headeronly6detail27GenericPackedTensorAccessorINS7_14TensorAccessorIN3c108ArrayRefIlEElLm3ENS6_16DefaultPtrTraitsElEENS_6detail16IndexBoundsCheckILm4ElEElLm4ESD_lEENS8_INS9_ISC_S2_Lm3ESD_lEESH_S2_Lm4ESD_lEEi.num_named_barrier, 0
	.set _ZN2at6native31max_unpooling3d_backward_kernelIdEEvPKT_lllN5torch10headeronly6detail27GenericPackedTensorAccessorINS7_14TensorAccessorIN3c108ArrayRefIlEElLm3ENS6_16DefaultPtrTraitsElEENS_6detail16IndexBoundsCheckILm4ElEElLm4ESD_lEENS8_INS9_ISC_S2_Lm3ESD_lEESH_S2_Lm4ESD_lEEi.private_seg_size, 0
	.set _ZN2at6native31max_unpooling3d_backward_kernelIdEEvPKT_lllN5torch10headeronly6detail27GenericPackedTensorAccessorINS7_14TensorAccessorIN3c108ArrayRefIlEElLm3ENS6_16DefaultPtrTraitsElEENS_6detail16IndexBoundsCheckILm4ElEElLm4ESD_lEENS8_INS9_ISC_S2_Lm3ESD_lEESH_S2_Lm4ESD_lEEi.uses_vcc, 1
	.set _ZN2at6native31max_unpooling3d_backward_kernelIdEEvPKT_lllN5torch10headeronly6detail27GenericPackedTensorAccessorINS7_14TensorAccessorIN3c108ArrayRefIlEElLm3ENS6_16DefaultPtrTraitsElEENS_6detail16IndexBoundsCheckILm4ElEElLm4ESD_lEENS8_INS9_ISC_S2_Lm3ESD_lEESH_S2_Lm4ESD_lEEi.uses_flat_scratch, 0
	.set _ZN2at6native31max_unpooling3d_backward_kernelIdEEvPKT_lllN5torch10headeronly6detail27GenericPackedTensorAccessorINS7_14TensorAccessorIN3c108ArrayRefIlEElLm3ENS6_16DefaultPtrTraitsElEENS_6detail16IndexBoundsCheckILm4ElEElLm4ESD_lEENS8_INS9_ISC_S2_Lm3ESD_lEESH_S2_Lm4ESD_lEEi.has_dyn_sized_stack, 0
	.set _ZN2at6native31max_unpooling3d_backward_kernelIdEEvPKT_lllN5torch10headeronly6detail27GenericPackedTensorAccessorINS7_14TensorAccessorIN3c108ArrayRefIlEElLm3ENS6_16DefaultPtrTraitsElEENS_6detail16IndexBoundsCheckILm4ElEElLm4ESD_lEENS8_INS9_ISC_S2_Lm3ESD_lEESH_S2_Lm4ESD_lEEi.has_recursion, 0
	.set _ZN2at6native31max_unpooling3d_backward_kernelIdEEvPKT_lllN5torch10headeronly6detail27GenericPackedTensorAccessorINS7_14TensorAccessorIN3c108ArrayRefIlEElLm3ENS6_16DefaultPtrTraitsElEENS_6detail16IndexBoundsCheckILm4ElEElLm4ESD_lEENS8_INS9_ISC_S2_Lm3ESD_lEESH_S2_Lm4ESD_lEEi.has_indirect_call, 0
	.section	.AMDGPU.csdata,"",@progbits
; Kernel info:
; codeLenInByte = 1252
; TotalNumSgprs: 27
; NumVgprs: 8
; ScratchSize: 0
; MemoryBound: 0
; FloatMode: 240
; IeeeMode: 1
; LDSByteSize: 0 bytes/workgroup (compile time only)
; SGPRBlocks: 0
; VGPRBlocks: 0
; NumSGPRsForWavesPerEU: 27
; NumVGPRsForWavesPerEU: 8
; NamedBarCnt: 0
; Occupancy: 16
; WaveLimiterHint : 1
; COMPUTE_PGM_RSRC2:SCRATCH_EN: 0
; COMPUTE_PGM_RSRC2:USER_SGPR: 2
; COMPUTE_PGM_RSRC2:TRAP_HANDLER: 0
; COMPUTE_PGM_RSRC2:TGID_X_EN: 1
; COMPUTE_PGM_RSRC2:TGID_Y_EN: 1
; COMPUTE_PGM_RSRC2:TGID_Z_EN: 1
; COMPUTE_PGM_RSRC2:TIDIG_COMP_CNT: 1
	.section	.text._ZN2at6native31max_unpooling3d_backward_kernelIfEEvPKT_lllN5torch10headeronly6detail27GenericPackedTensorAccessorINS7_14TensorAccessorIN3c108ArrayRefIlEElLm3ENS6_16DefaultPtrTraitsElEENS_6detail16IndexBoundsCheckILm4ElEElLm4ESD_lEENS8_INS9_ISC_S2_Lm3ESD_lEESH_S2_Lm4ESD_lEEi,"axG",@progbits,_ZN2at6native31max_unpooling3d_backward_kernelIfEEvPKT_lllN5torch10headeronly6detail27GenericPackedTensorAccessorINS7_14TensorAccessorIN3c108ArrayRefIlEElLm3ENS6_16DefaultPtrTraitsElEENS_6detail16IndexBoundsCheckILm4ElEElLm4ESD_lEENS8_INS9_ISC_S2_Lm3ESD_lEESH_S2_Lm4ESD_lEEi,comdat
	.protected	_ZN2at6native31max_unpooling3d_backward_kernelIfEEvPKT_lllN5torch10headeronly6detail27GenericPackedTensorAccessorINS7_14TensorAccessorIN3c108ArrayRefIlEElLm3ENS6_16DefaultPtrTraitsElEENS_6detail16IndexBoundsCheckILm4ElEElLm4ESD_lEENS8_INS9_ISC_S2_Lm3ESD_lEESH_S2_Lm4ESD_lEEi ; -- Begin function _ZN2at6native31max_unpooling3d_backward_kernelIfEEvPKT_lllN5torch10headeronly6detail27GenericPackedTensorAccessorINS7_14TensorAccessorIN3c108ArrayRefIlEElLm3ENS6_16DefaultPtrTraitsElEENS_6detail16IndexBoundsCheckILm4ElEElLm4ESD_lEENS8_INS9_ISC_S2_Lm3ESD_lEESH_S2_Lm4ESD_lEEi
	.globl	_ZN2at6native31max_unpooling3d_backward_kernelIfEEvPKT_lllN5torch10headeronly6detail27GenericPackedTensorAccessorINS7_14TensorAccessorIN3c108ArrayRefIlEElLm3ENS6_16DefaultPtrTraitsElEENS_6detail16IndexBoundsCheckILm4ElEElLm4ESD_lEENS8_INS9_ISC_S2_Lm3ESD_lEESH_S2_Lm4ESD_lEEi
	.p2align	8
	.type	_ZN2at6native31max_unpooling3d_backward_kernelIfEEvPKT_lllN5torch10headeronly6detail27GenericPackedTensorAccessorINS7_14TensorAccessorIN3c108ArrayRefIlEElLm3ENS6_16DefaultPtrTraitsElEENS_6detail16IndexBoundsCheckILm4ElEElLm4ESD_lEENS8_INS9_ISC_S2_Lm3ESD_lEESH_S2_Lm4ESD_lEEi,@function
_ZN2at6native31max_unpooling3d_backward_kernelIfEEvPKT_lllN5torch10headeronly6detail27GenericPackedTensorAccessorINS7_14TensorAccessorIN3c108ArrayRefIlEElLm3ENS6_16DefaultPtrTraitsElEENS_6detail16IndexBoundsCheckILm4ElEElLm4ESD_lEENS8_INS9_ISC_S2_Lm3ESD_lEESH_S2_Lm4ESD_lEEi: ; @_ZN2at6native31max_unpooling3d_backward_kernelIfEEvPKT_lllN5torch10headeronly6detail27GenericPackedTensorAccessorINS7_14TensorAccessorIN3c108ArrayRefIlEElLm3ENS6_16DefaultPtrTraitsElEENS_6detail16IndexBoundsCheckILm4ElEElLm4ESD_lEENS8_INS9_ISC_S2_Lm3ESD_lEESH_S2_Lm4ESD_lEEi
; %bb.0:
	v_mov_b32_e32 v1, 0
	s_bfe_u32 s5, ttmp6, 0x40014
	s_lshr_b32 s6, ttmp7, 16
	s_add_co_i32 s5, s5, 1
	s_bfe_u32 s7, ttmp6, 0x40008
	global_load_u16 v1, v1, s[0:1] offset:198
	s_clause 0x1
	s_load_b64 s[2:3], s[0:1], 0x78
	s_load_b32 s4, s[0:1], 0xb0
	s_mul_i32 s5, s6, s5
	s_getreg_b32 s10, hwreg(HW_REG_IB_STS2, 6, 4)
	s_add_co_i32 s7, s7, s5
	s_cmp_eq_u32 s10, 0
	s_cselect_b32 s5, s6, s7
	s_wait_kmcnt 0x0
	s_and_b64 s[6:7], s[2:3], 0xffffffff00000000
	s_add_co_i32 s4, s4, s5
	s_cmp_lg_u64 s[6:7], 0
	s_mov_b32 s5, 0
	s_cbranch_scc0 .LBB33_7
; %bb.1:
	s_ashr_i32 s6, s3, 31
	s_mov_b32 s17, s5
	s_mov_b32 s7, s6
	;; [unrolled: 1-line block ×3, first 2 shown]
	s_add_nc_u64 s[8:9], s[2:3], s[6:7]
	s_delay_alu instid0(SALU_CYCLE_1) | instskip(NEXT) | instid1(SALU_CYCLE_1)
	s_xor_b64 s[8:9], s[8:9], s[6:7]
	s_cvt_f32_u32 s3, s8
	s_cvt_f32_u32 s11, s9
	s_sub_nc_u64 s[14:15], 0, s[8:9]
	s_delay_alu instid0(SALU_CYCLE_2) | instskip(NEXT) | instid1(SALU_CYCLE_3)
	s_fmamk_f32 s3, s11, 0x4f800000, s3
	v_s_rcp_f32 s3, s3
	s_delay_alu instid0(TRANS32_DEP_1) | instskip(NEXT) | instid1(SALU_CYCLE_3)
	s_mul_f32 s3, s3, 0x5f7ffffc
	s_mul_f32 s11, s3, 0x2f800000
	s_delay_alu instid0(SALU_CYCLE_3) | instskip(NEXT) | instid1(SALU_CYCLE_3)
	s_trunc_f32 s11, s11
	s_fmamk_f32 s3, s11, 0xcf800000, s3
	s_cvt_u32_f32 s13, s11
	s_delay_alu instid0(SALU_CYCLE_2) | instskip(NEXT) | instid1(SALU_CYCLE_3)
	s_cvt_u32_f32 s12, s3
	s_mul_u64 s[18:19], s[14:15], s[12:13]
	s_delay_alu instid0(SALU_CYCLE_1)
	s_mul_hi_u32 s23, s12, s19
	s_mul_i32 s22, s12, s19
	s_mul_hi_u32 s16, s12, s18
	s_mul_i32 s11, s13, s18
	s_add_nc_u64 s[16:17], s[16:17], s[22:23]
	s_mul_hi_u32 s3, s13, s18
	s_mul_hi_u32 s24, s13, s19
	s_add_co_u32 s11, s16, s11
	s_add_co_ci_u32 s20, s17, s3
	s_mul_i32 s18, s13, s19
	s_add_co_ci_u32 s19, s24, 0
	s_delay_alu instid0(SALU_CYCLE_1) | instskip(SKIP_3) | instid1(SALU_CYCLE_1)
	s_add_nc_u64 s[16:17], s[20:21], s[18:19]
	s_mov_b32 s19, s5
	s_add_co_u32 s12, s12, s16
	s_cselect_b32 s3, -1, 0
	s_cmp_lg_u32 s3, 0
	s_add_co_ci_u32 s13, s13, s17
	s_mov_b32 s17, s5
	s_mul_u64 s[14:15], s[14:15], s[12:13]
	s_delay_alu instid0(SALU_CYCLE_1)
	s_mul_hi_u32 s21, s12, s15
	s_mul_i32 s20, s12, s15
	s_mul_hi_u32 s16, s12, s14
	s_mul_i32 s11, s13, s14
	s_add_nc_u64 s[16:17], s[16:17], s[20:21]
	s_mul_hi_u32 s3, s13, s14
	s_mul_hi_u32 s22, s13, s15
	s_add_co_u32 s11, s16, s11
	s_add_co_ci_u32 s18, s17, s3
	s_mul_i32 s14, s13, s15
	s_add_co_ci_u32 s15, s22, 0
	s_add_nc_u64 s[16:17], s[4:5], 0
	s_add_nc_u64 s[14:15], s[18:19], s[14:15]
	s_delay_alu instid0(SALU_CYCLE_1) | instskip(SKIP_1) | instid1(SALU_CYCLE_1)
	s_add_co_u32 s3, s12, s14
	s_cselect_b32 s11, -1, 0
	s_cmp_lg_u32 s11, 0
	s_add_co_ci_u32 s11, s13, s15
	s_xor_b64 s[12:13], s[16:17], 0
	s_mov_b32 s15, s5
	s_mul_hi_u32 s17, s12, s11
	s_mul_i32 s16, s12, s11
	s_mul_hi_u32 s18, s12, s3
	s_mul_hi_u32 s14, s13, s3
	s_mul_i32 s3, s13, s3
	s_add_nc_u64 s[16:17], s[18:19], s[16:17]
	s_mul_hi_u32 s20, s13, s11
	s_add_co_u32 s3, s16, s3
	s_add_co_ci_u32 s14, s17, s14
	s_mul_i32 s18, s13, s11
	s_add_co_ci_u32 s19, s20, 0
	s_delay_alu instid0(SALU_CYCLE_1) | instskip(NEXT) | instid1(SALU_CYCLE_1)
	s_add_nc_u64 s[14:15], s[14:15], s[18:19]
	s_and_b64 s[16:17], s[14:15], 0xffffffff00000000
	s_delay_alu instid0(SALU_CYCLE_1) | instskip(NEXT) | instid1(SALU_CYCLE_1)
	s_or_b32 s16, s16, s14
	s_mul_u64 s[14:15], s[8:9], s[16:17]
	s_delay_alu instid0(SALU_CYCLE_1)
	s_sub_co_u32 s3, s12, s14
	s_cselect_b32 s11, -1, 0
	s_sub_co_i32 s12, s13, s15
	s_cmp_lg_u32 s11, 0
	s_sub_co_ci_u32 s12, s12, s9
	s_sub_co_u32 s14, s3, s8
	s_cselect_b32 s18, -1, 0
	s_delay_alu instid0(SALU_CYCLE_1) | instskip(SKIP_2) | instid1(SALU_CYCLE_1)
	s_cmp_lg_u32 s18, 0
	s_add_nc_u64 s[18:19], s[16:17], 1
	s_sub_co_ci_u32 s12, s12, 0
	s_cmp_ge_u32 s12, s9
	s_cselect_b32 s20, -1, 0
	s_cmp_ge_u32 s14, s8
	s_cselect_b32 s14, -1, 0
	s_cmp_eq_u32 s12, s9
	s_cselect_b32 s12, s14, s20
	s_add_nc_u64 s[20:21], s[16:17], 2
	s_cmp_lg_u32 s12, 0
	s_cselect_b32 s12, s20, s18
	s_cselect_b32 s14, s21, s19
	s_cmp_lg_u32 s11, 0
	s_sub_co_ci_u32 s11, s13, s15
	s_delay_alu instid0(SALU_CYCLE_1)
	s_cmp_ge_u32 s11, s9
	s_cselect_b32 s13, -1, 0
	s_cmp_ge_u32 s3, s8
	s_cselect_b32 s3, -1, 0
	s_cmp_eq_u32 s11, s9
	s_cselect_b32 s3, s3, s13
	s_delay_alu instid0(SALU_CYCLE_1) | instskip(SKIP_3) | instid1(SALU_CYCLE_1)
	s_cmp_lg_u32 s3, 0
	s_cselect_b32 s9, s14, s17
	s_cselect_b32 s8, s12, s16
	s_xor_b64 s[6:7], 0, s[6:7]
	s_xor_b64 s[8:9], s[8:9], s[6:7]
	s_delay_alu instid0(SALU_CYCLE_1)
	s_sub_nc_u64 s[6:7], s[8:9], s[6:7]
	s_and_not1_b32 vcc_lo, exec_lo, s5
	s_cbranch_vccnz .LBB33_3
.LBB33_2:
	v_cvt_f32_u32_e32 v2, s2
	s_sub_co_i32 s5, 0, s2
	s_delay_alu instid0(VALU_DEP_1) | instskip(SKIP_1) | instid1(TRANS32_DEP_1)
	v_rcp_iflag_f32_e32 v2, v2
	v_nop
	v_mul_f32_e32 v2, 0x4f7ffffe, v2
	s_delay_alu instid0(VALU_DEP_1) | instskip(NEXT) | instid1(VALU_DEP_1)
	v_cvt_u32_f32_e32 v2, v2
	v_readfirstlane_b32 s3, v2
	s_mul_i32 s5, s5, s3
	s_delay_alu instid0(SALU_CYCLE_1) | instskip(NEXT) | instid1(SALU_CYCLE_1)
	s_mul_hi_u32 s5, s3, s5
	s_add_co_i32 s3, s3, s5
	s_delay_alu instid0(SALU_CYCLE_1) | instskip(NEXT) | instid1(SALU_CYCLE_1)
	s_mul_hi_u32 s3, s4, s3
	s_mul_i32 s5, s3, s2
	s_add_co_i32 s6, s3, 1
	s_sub_co_i32 s5, s4, s5
	s_delay_alu instid0(SALU_CYCLE_1)
	s_sub_co_i32 s7, s5, s2
	s_cmp_ge_u32 s5, s2
	s_cselect_b32 s3, s6, s3
	s_cselect_b32 s5, s7, s5
	s_add_co_i32 s6, s3, 1
	s_cmp_ge_u32 s5, s2
	s_mov_b32 s7, 0
	s_cselect_b32 s6, s6, s3
.LBB33_3:
	s_bfe_u32 s3, ttmp6, 0x40010
	s_and_b32 s5, ttmp7, 0xffff
	s_add_co_i32 s3, s3, 1
	s_bfe_u32 s8, ttmp6, 0x40004
	s_mul_i32 s3, s5, s3
	s_wait_loadcnt 0x0
	v_and_b32_e32 v1, 0xffff, v1
	s_add_co_i32 s3, s8, s3
	v_bfe_u32 v2, v0, 10, 10
	s_cmp_eq_u32 s10, 0
	s_load_b64 s[8:9], s[0:1], 0x80
	s_cselect_b32 s3, s5, s3
	s_delay_alu instid0(VALU_DEP_1) | instid1(SALU_CYCLE_1)
	v_mad_u32 v2, s3, v1, v2
	s_mov_b32 s3, exec_lo
	s_delay_alu instid0(VALU_DEP_1) | instskip(SKIP_1) | instid1(VALU_DEP_1)
	v_ashrrev_i32_e32 v3, 31, v2
	s_wait_kmcnt 0x0
	v_cmpx_gt_i64_e64 s[8:9], v[2:3]
	s_cbranch_execz .LBB33_6
; %bb.4:
	s_add_nc_u64 s[8:9], s[0:1], 0xb8
	s_bfe_u32 s5, ttmp6, 0x4000c
	s_load_b32 s3, s[8:9], 0xc
	s_add_co_i32 s5, s5, 1
	s_wait_xcnt 0x0
	s_and_b32 s8, ttmp6, 15
	s_mul_i32 s5, ttmp9, s5
	v_and_b32_e32 v0, 0x3ff, v0
	s_add_co_i32 s5, s8, s5
	s_load_b64 s[8:9], s[0:1], 0x88
	s_wait_kmcnt 0x0
	s_and_b32 s3, s3, 0xffff
	s_cmp_eq_u32 s10, 0
	s_cselect_b32 s5, ttmp9, s5
	s_delay_alu instid0(SALU_CYCLE_1) | instskip(NEXT) | instid1(VALU_DEP_1)
	v_mad_u32 v0, s5, s3, v0
	v_ashrrev_i32_e32 v1, 31, v0
	s_delay_alu instid0(VALU_DEP_1)
	v_cmp_gt_i64_e32 vcc_lo, s[8:9], v[0:1]
	s_and_b32 exec_lo, exec_lo, vcc_lo
	s_cbranch_execz .LBB33_6
; %bb.5:
	s_load_b256 s[8:15], s[0:1], 0x48
	s_mul_i32 s5, s6, s2
	s_bfe_i64 s[2:3], s[6:7], 0x200000
	s_wait_kmcnt 0x0
	v_mul_u64_e32 v[4:5], s[12:13], v[2:3]
	v_mul_u64_e32 v[6:7], s[14:15], v[0:1]
	s_load_b64 s[12:13], s[0:1], 0x20
	s_sub_co_i32 s14, s4, s5
	s_mul_u64 s[4:5], s[8:9], s[2:3]
	s_ashr_i32 s15, s14, 31
	s_lshl_b64 s[4:5], s[4:5], 3
	s_mul_u64 s[6:7], s[10:11], s[14:15]
	s_delay_alu instid0(SALU_CYCLE_1) | instskip(SKIP_2) | instid1(SALU_CYCLE_1)
	s_lshl_b64 s[6:7], s[6:7], 3
	s_wait_kmcnt 0x0
	s_add_nc_u64 s[4:5], s[12:13], s[4:5]
	s_add_nc_u64 s[4:5], s[4:5], s[6:7]
	s_delay_alu instid0(VALU_DEP_2) | instid1(SALU_CYCLE_1)
	v_lshl_add_u64 v[4:5], v[4:5], 3, s[4:5]
	s_load_b256 s[4:11], s[0:1], 0x0
	s_delay_alu instid0(VALU_DEP_1) | instskip(SKIP_3) | instid1(SALU_CYCLE_1)
	v_lshl_add_u64 v[4:5], v[6:7], 3, v[4:5]
	global_load_b64 v[4:5], v[4:5], off
	s_wait_kmcnt 0x0
	s_mul_u64 s[6:7], s[8:9], s[6:7]
	s_mul_u64 s[6:7], s[6:7], s[10:11]
	s_delay_alu instid0(SALU_CYCLE_1) | instskip(NEXT) | instid1(SALU_CYCLE_1)
	s_mul_u64 s[6:7], s[6:7], s[2:3]
	s_lshl_b64 s[6:7], s[6:7], 2
	s_delay_alu instid0(SALU_CYCLE_1)
	s_add_nc_u64 s[4:5], s[4:5], s[6:7]
	s_wait_loadcnt 0x0
	v_lshl_add_u64 v[4:5], v[4:5], 2, s[4:5]
	s_load_b256 s[4:11], s[0:1], 0x90
	global_load_b32 v4, v[4:5], off
	s_load_b64 s[0:1], s[0:1], 0x68
	s_wait_kmcnt 0x0
	v_mul_u64_e32 v[2:3], s[8:9], v[2:3]
	v_mul_u64_e32 v[0:1], s[10:11], v[0:1]
	s_mul_u64 s[2:3], s[4:5], s[2:3]
	s_mul_u64 s[4:5], s[6:7], s[14:15]
	s_lshl_b64 s[2:3], s[2:3], 2
	s_delay_alu instid0(SALU_CYCLE_1) | instskip(SKIP_1) | instid1(SALU_CYCLE_1)
	s_add_nc_u64 s[0:1], s[0:1], s[2:3]
	s_lshl_b64 s[2:3], s[4:5], 2
	s_add_nc_u64 s[0:1], s[0:1], s[2:3]
	s_delay_alu instid0(VALU_DEP_2) | instid1(SALU_CYCLE_1)
	v_lshl_add_u64 v[2:3], v[2:3], 2, s[0:1]
	s_delay_alu instid0(VALU_DEP_1)
	v_lshl_add_u64 v[0:1], v[0:1], 2, v[2:3]
	s_wait_loadcnt 0x0
	global_store_b32 v[0:1], v4, off
.LBB33_6:
	s_endpgm
.LBB33_7:
                                        ; implicit-def: $sgpr6_sgpr7
	s_branch .LBB33_2
	.section	.rodata,"a",@progbits
	.p2align	6, 0x0
	.amdhsa_kernel _ZN2at6native31max_unpooling3d_backward_kernelIfEEvPKT_lllN5torch10headeronly6detail27GenericPackedTensorAccessorINS7_14TensorAccessorIN3c108ArrayRefIlEElLm3ENS6_16DefaultPtrTraitsElEENS_6detail16IndexBoundsCheckILm4ElEElLm4ESD_lEENS8_INS9_ISC_S2_Lm3ESD_lEESH_S2_Lm4ESD_lEEi
		.amdhsa_group_segment_fixed_size 0
		.amdhsa_private_segment_fixed_size 0
		.amdhsa_kernarg_size 440
		.amdhsa_user_sgpr_count 2
		.amdhsa_user_sgpr_dispatch_ptr 0
		.amdhsa_user_sgpr_queue_ptr 0
		.amdhsa_user_sgpr_kernarg_segment_ptr 1
		.amdhsa_user_sgpr_dispatch_id 0
		.amdhsa_user_sgpr_kernarg_preload_length 0
		.amdhsa_user_sgpr_kernarg_preload_offset 0
		.amdhsa_user_sgpr_private_segment_size 0
		.amdhsa_wavefront_size32 1
		.amdhsa_uses_dynamic_stack 0
		.amdhsa_enable_private_segment 0
		.amdhsa_system_sgpr_workgroup_id_x 1
		.amdhsa_system_sgpr_workgroup_id_y 1
		.amdhsa_system_sgpr_workgroup_id_z 1
		.amdhsa_system_sgpr_workgroup_info 0
		.amdhsa_system_vgpr_workitem_id 1
		.amdhsa_next_free_vgpr 8
		.amdhsa_next_free_sgpr 25
		.amdhsa_named_barrier_count 0
		.amdhsa_reserve_vcc 1
		.amdhsa_float_round_mode_32 0
		.amdhsa_float_round_mode_16_64 0
		.amdhsa_float_denorm_mode_32 3
		.amdhsa_float_denorm_mode_16_64 3
		.amdhsa_fp16_overflow 0
		.amdhsa_memory_ordered 1
		.amdhsa_forward_progress 1
		.amdhsa_inst_pref_size 10
		.amdhsa_round_robin_scheduling 0
		.amdhsa_exception_fp_ieee_invalid_op 0
		.amdhsa_exception_fp_denorm_src 0
		.amdhsa_exception_fp_ieee_div_zero 0
		.amdhsa_exception_fp_ieee_overflow 0
		.amdhsa_exception_fp_ieee_underflow 0
		.amdhsa_exception_fp_ieee_inexact 0
		.amdhsa_exception_int_div_zero 0
	.end_amdhsa_kernel
	.section	.text._ZN2at6native31max_unpooling3d_backward_kernelIfEEvPKT_lllN5torch10headeronly6detail27GenericPackedTensorAccessorINS7_14TensorAccessorIN3c108ArrayRefIlEElLm3ENS6_16DefaultPtrTraitsElEENS_6detail16IndexBoundsCheckILm4ElEElLm4ESD_lEENS8_INS9_ISC_S2_Lm3ESD_lEESH_S2_Lm4ESD_lEEi,"axG",@progbits,_ZN2at6native31max_unpooling3d_backward_kernelIfEEvPKT_lllN5torch10headeronly6detail27GenericPackedTensorAccessorINS7_14TensorAccessorIN3c108ArrayRefIlEElLm3ENS6_16DefaultPtrTraitsElEENS_6detail16IndexBoundsCheckILm4ElEElLm4ESD_lEENS8_INS9_ISC_S2_Lm3ESD_lEESH_S2_Lm4ESD_lEEi,comdat
.Lfunc_end33:
	.size	_ZN2at6native31max_unpooling3d_backward_kernelIfEEvPKT_lllN5torch10headeronly6detail27GenericPackedTensorAccessorINS7_14TensorAccessorIN3c108ArrayRefIlEElLm3ENS6_16DefaultPtrTraitsElEENS_6detail16IndexBoundsCheckILm4ElEElLm4ESD_lEENS8_INS9_ISC_S2_Lm3ESD_lEESH_S2_Lm4ESD_lEEi, .Lfunc_end33-_ZN2at6native31max_unpooling3d_backward_kernelIfEEvPKT_lllN5torch10headeronly6detail27GenericPackedTensorAccessorINS7_14TensorAccessorIN3c108ArrayRefIlEElLm3ENS6_16DefaultPtrTraitsElEENS_6detail16IndexBoundsCheckILm4ElEElLm4ESD_lEENS8_INS9_ISC_S2_Lm3ESD_lEESH_S2_Lm4ESD_lEEi
                                        ; -- End function
	.set _ZN2at6native31max_unpooling3d_backward_kernelIfEEvPKT_lllN5torch10headeronly6detail27GenericPackedTensorAccessorINS7_14TensorAccessorIN3c108ArrayRefIlEElLm3ENS6_16DefaultPtrTraitsElEENS_6detail16IndexBoundsCheckILm4ElEElLm4ESD_lEENS8_INS9_ISC_S2_Lm3ESD_lEESH_S2_Lm4ESD_lEEi.num_vgpr, 8
	.set _ZN2at6native31max_unpooling3d_backward_kernelIfEEvPKT_lllN5torch10headeronly6detail27GenericPackedTensorAccessorINS7_14TensorAccessorIN3c108ArrayRefIlEElLm3ENS6_16DefaultPtrTraitsElEENS_6detail16IndexBoundsCheckILm4ElEElLm4ESD_lEENS8_INS9_ISC_S2_Lm3ESD_lEESH_S2_Lm4ESD_lEEi.num_agpr, 0
	.set _ZN2at6native31max_unpooling3d_backward_kernelIfEEvPKT_lllN5torch10headeronly6detail27GenericPackedTensorAccessorINS7_14TensorAccessorIN3c108ArrayRefIlEElLm3ENS6_16DefaultPtrTraitsElEENS_6detail16IndexBoundsCheckILm4ElEElLm4ESD_lEENS8_INS9_ISC_S2_Lm3ESD_lEESH_S2_Lm4ESD_lEEi.numbered_sgpr, 25
	.set _ZN2at6native31max_unpooling3d_backward_kernelIfEEvPKT_lllN5torch10headeronly6detail27GenericPackedTensorAccessorINS7_14TensorAccessorIN3c108ArrayRefIlEElLm3ENS6_16DefaultPtrTraitsElEENS_6detail16IndexBoundsCheckILm4ElEElLm4ESD_lEENS8_INS9_ISC_S2_Lm3ESD_lEESH_S2_Lm4ESD_lEEi.num_named_barrier, 0
	.set _ZN2at6native31max_unpooling3d_backward_kernelIfEEvPKT_lllN5torch10headeronly6detail27GenericPackedTensorAccessorINS7_14TensorAccessorIN3c108ArrayRefIlEElLm3ENS6_16DefaultPtrTraitsElEENS_6detail16IndexBoundsCheckILm4ElEElLm4ESD_lEENS8_INS9_ISC_S2_Lm3ESD_lEESH_S2_Lm4ESD_lEEi.private_seg_size, 0
	.set _ZN2at6native31max_unpooling3d_backward_kernelIfEEvPKT_lllN5torch10headeronly6detail27GenericPackedTensorAccessorINS7_14TensorAccessorIN3c108ArrayRefIlEElLm3ENS6_16DefaultPtrTraitsElEENS_6detail16IndexBoundsCheckILm4ElEElLm4ESD_lEENS8_INS9_ISC_S2_Lm3ESD_lEESH_S2_Lm4ESD_lEEi.uses_vcc, 1
	.set _ZN2at6native31max_unpooling3d_backward_kernelIfEEvPKT_lllN5torch10headeronly6detail27GenericPackedTensorAccessorINS7_14TensorAccessorIN3c108ArrayRefIlEElLm3ENS6_16DefaultPtrTraitsElEENS_6detail16IndexBoundsCheckILm4ElEElLm4ESD_lEENS8_INS9_ISC_S2_Lm3ESD_lEESH_S2_Lm4ESD_lEEi.uses_flat_scratch, 0
	.set _ZN2at6native31max_unpooling3d_backward_kernelIfEEvPKT_lllN5torch10headeronly6detail27GenericPackedTensorAccessorINS7_14TensorAccessorIN3c108ArrayRefIlEElLm3ENS6_16DefaultPtrTraitsElEENS_6detail16IndexBoundsCheckILm4ElEElLm4ESD_lEENS8_INS9_ISC_S2_Lm3ESD_lEESH_S2_Lm4ESD_lEEi.has_dyn_sized_stack, 0
	.set _ZN2at6native31max_unpooling3d_backward_kernelIfEEvPKT_lllN5torch10headeronly6detail27GenericPackedTensorAccessorINS7_14TensorAccessorIN3c108ArrayRefIlEElLm3ENS6_16DefaultPtrTraitsElEENS_6detail16IndexBoundsCheckILm4ElEElLm4ESD_lEENS8_INS9_ISC_S2_Lm3ESD_lEESH_S2_Lm4ESD_lEEi.has_recursion, 0
	.set _ZN2at6native31max_unpooling3d_backward_kernelIfEEvPKT_lllN5torch10headeronly6detail27GenericPackedTensorAccessorINS7_14TensorAccessorIN3c108ArrayRefIlEElLm3ENS6_16DefaultPtrTraitsElEENS_6detail16IndexBoundsCheckILm4ElEElLm4ESD_lEENS8_INS9_ISC_S2_Lm3ESD_lEESH_S2_Lm4ESD_lEEi.has_indirect_call, 0
	.section	.AMDGPU.csdata,"",@progbits
; Kernel info:
; codeLenInByte = 1252
; TotalNumSgprs: 27
; NumVgprs: 8
; ScratchSize: 0
; MemoryBound: 0
; FloatMode: 240
; IeeeMode: 1
; LDSByteSize: 0 bytes/workgroup (compile time only)
; SGPRBlocks: 0
; VGPRBlocks: 0
; NumSGPRsForWavesPerEU: 27
; NumVGPRsForWavesPerEU: 8
; NamedBarCnt: 0
; Occupancy: 16
; WaveLimiterHint : 1
; COMPUTE_PGM_RSRC2:SCRATCH_EN: 0
; COMPUTE_PGM_RSRC2:USER_SGPR: 2
; COMPUTE_PGM_RSRC2:TRAP_HANDLER: 0
; COMPUTE_PGM_RSRC2:TGID_X_EN: 1
; COMPUTE_PGM_RSRC2:TGID_Y_EN: 1
; COMPUTE_PGM_RSRC2:TGID_Z_EN: 1
; COMPUTE_PGM_RSRC2:TIDIG_COMP_CNT: 1
	.section	.text._ZN2at6native31max_unpooling3d_backward_kernelIN3c104HalfEEEvPKT_lllN5torch10headeronly6detail27GenericPackedTensorAccessorINS9_14TensorAccessorINS2_8ArrayRefIlEElLm3ENS8_16DefaultPtrTraitsElEENS_6detail16IndexBoundsCheckILm4ElEElLm4ESE_lEENSA_INSB_ISD_S4_Lm3ESE_lEESI_S4_Lm4ESE_lEEi,"axG",@progbits,_ZN2at6native31max_unpooling3d_backward_kernelIN3c104HalfEEEvPKT_lllN5torch10headeronly6detail27GenericPackedTensorAccessorINS9_14TensorAccessorINS2_8ArrayRefIlEElLm3ENS8_16DefaultPtrTraitsElEENS_6detail16IndexBoundsCheckILm4ElEElLm4ESE_lEENSA_INSB_ISD_S4_Lm3ESE_lEESI_S4_Lm4ESE_lEEi,comdat
	.protected	_ZN2at6native31max_unpooling3d_backward_kernelIN3c104HalfEEEvPKT_lllN5torch10headeronly6detail27GenericPackedTensorAccessorINS9_14TensorAccessorINS2_8ArrayRefIlEElLm3ENS8_16DefaultPtrTraitsElEENS_6detail16IndexBoundsCheckILm4ElEElLm4ESE_lEENSA_INSB_ISD_S4_Lm3ESE_lEESI_S4_Lm4ESE_lEEi ; -- Begin function _ZN2at6native31max_unpooling3d_backward_kernelIN3c104HalfEEEvPKT_lllN5torch10headeronly6detail27GenericPackedTensorAccessorINS9_14TensorAccessorINS2_8ArrayRefIlEElLm3ENS8_16DefaultPtrTraitsElEENS_6detail16IndexBoundsCheckILm4ElEElLm4ESE_lEENSA_INSB_ISD_S4_Lm3ESE_lEESI_S4_Lm4ESE_lEEi
	.globl	_ZN2at6native31max_unpooling3d_backward_kernelIN3c104HalfEEEvPKT_lllN5torch10headeronly6detail27GenericPackedTensorAccessorINS9_14TensorAccessorINS2_8ArrayRefIlEElLm3ENS8_16DefaultPtrTraitsElEENS_6detail16IndexBoundsCheckILm4ElEElLm4ESE_lEENSA_INSB_ISD_S4_Lm3ESE_lEESI_S4_Lm4ESE_lEEi
	.p2align	8
	.type	_ZN2at6native31max_unpooling3d_backward_kernelIN3c104HalfEEEvPKT_lllN5torch10headeronly6detail27GenericPackedTensorAccessorINS9_14TensorAccessorINS2_8ArrayRefIlEElLm3ENS8_16DefaultPtrTraitsElEENS_6detail16IndexBoundsCheckILm4ElEElLm4ESE_lEENSA_INSB_ISD_S4_Lm3ESE_lEESI_S4_Lm4ESE_lEEi,@function
_ZN2at6native31max_unpooling3d_backward_kernelIN3c104HalfEEEvPKT_lllN5torch10headeronly6detail27GenericPackedTensorAccessorINS9_14TensorAccessorINS2_8ArrayRefIlEElLm3ENS8_16DefaultPtrTraitsElEENS_6detail16IndexBoundsCheckILm4ElEElLm4ESE_lEENSA_INSB_ISD_S4_Lm3ESE_lEESI_S4_Lm4ESE_lEEi: ; @_ZN2at6native31max_unpooling3d_backward_kernelIN3c104HalfEEEvPKT_lllN5torch10headeronly6detail27GenericPackedTensorAccessorINS9_14TensorAccessorINS2_8ArrayRefIlEElLm3ENS8_16DefaultPtrTraitsElEENS_6detail16IndexBoundsCheckILm4ElEElLm4ESE_lEENSA_INSB_ISD_S4_Lm3ESE_lEESI_S4_Lm4ESE_lEEi
; %bb.0:
	v_mov_b32_e32 v1, 0
	s_bfe_u32 s5, ttmp6, 0x40014
	s_lshr_b32 s6, ttmp7, 16
	s_add_co_i32 s5, s5, 1
	s_bfe_u32 s7, ttmp6, 0x40008
	global_load_u16 v1, v1, s[0:1] offset:198
	s_clause 0x1
	s_load_b64 s[2:3], s[0:1], 0x78
	s_load_b32 s4, s[0:1], 0xb0
	s_mul_i32 s5, s6, s5
	s_getreg_b32 s10, hwreg(HW_REG_IB_STS2, 6, 4)
	s_add_co_i32 s7, s7, s5
	s_cmp_eq_u32 s10, 0
	s_cselect_b32 s5, s6, s7
	s_wait_kmcnt 0x0
	s_and_b64 s[6:7], s[2:3], 0xffffffff00000000
	s_add_co_i32 s4, s4, s5
	s_cmp_lg_u64 s[6:7], 0
	s_mov_b32 s5, 0
	s_cbranch_scc0 .LBB34_7
; %bb.1:
	s_ashr_i32 s6, s3, 31
	s_mov_b32 s17, s5
	s_mov_b32 s7, s6
	;; [unrolled: 1-line block ×3, first 2 shown]
	s_add_nc_u64 s[8:9], s[2:3], s[6:7]
	s_delay_alu instid0(SALU_CYCLE_1) | instskip(NEXT) | instid1(SALU_CYCLE_1)
	s_xor_b64 s[8:9], s[8:9], s[6:7]
	s_cvt_f32_u32 s3, s8
	s_cvt_f32_u32 s11, s9
	s_sub_nc_u64 s[14:15], 0, s[8:9]
	s_delay_alu instid0(SALU_CYCLE_2) | instskip(NEXT) | instid1(SALU_CYCLE_3)
	s_fmamk_f32 s3, s11, 0x4f800000, s3
	v_s_rcp_f32 s3, s3
	s_delay_alu instid0(TRANS32_DEP_1) | instskip(NEXT) | instid1(SALU_CYCLE_3)
	s_mul_f32 s3, s3, 0x5f7ffffc
	s_mul_f32 s11, s3, 0x2f800000
	s_delay_alu instid0(SALU_CYCLE_3) | instskip(NEXT) | instid1(SALU_CYCLE_3)
	s_trunc_f32 s11, s11
	s_fmamk_f32 s3, s11, 0xcf800000, s3
	s_cvt_u32_f32 s13, s11
	s_delay_alu instid0(SALU_CYCLE_2) | instskip(NEXT) | instid1(SALU_CYCLE_3)
	s_cvt_u32_f32 s12, s3
	s_mul_u64 s[18:19], s[14:15], s[12:13]
	s_delay_alu instid0(SALU_CYCLE_1)
	s_mul_hi_u32 s23, s12, s19
	s_mul_i32 s22, s12, s19
	s_mul_hi_u32 s16, s12, s18
	s_mul_i32 s11, s13, s18
	s_add_nc_u64 s[16:17], s[16:17], s[22:23]
	s_mul_hi_u32 s3, s13, s18
	s_mul_hi_u32 s24, s13, s19
	s_add_co_u32 s11, s16, s11
	s_add_co_ci_u32 s20, s17, s3
	s_mul_i32 s18, s13, s19
	s_add_co_ci_u32 s19, s24, 0
	s_delay_alu instid0(SALU_CYCLE_1) | instskip(SKIP_3) | instid1(SALU_CYCLE_1)
	s_add_nc_u64 s[16:17], s[20:21], s[18:19]
	s_mov_b32 s19, s5
	s_add_co_u32 s12, s12, s16
	s_cselect_b32 s3, -1, 0
	s_cmp_lg_u32 s3, 0
	s_add_co_ci_u32 s13, s13, s17
	s_mov_b32 s17, s5
	s_mul_u64 s[14:15], s[14:15], s[12:13]
	s_delay_alu instid0(SALU_CYCLE_1)
	s_mul_hi_u32 s21, s12, s15
	s_mul_i32 s20, s12, s15
	s_mul_hi_u32 s16, s12, s14
	s_mul_i32 s11, s13, s14
	s_add_nc_u64 s[16:17], s[16:17], s[20:21]
	s_mul_hi_u32 s3, s13, s14
	s_mul_hi_u32 s22, s13, s15
	s_add_co_u32 s11, s16, s11
	s_add_co_ci_u32 s18, s17, s3
	s_mul_i32 s14, s13, s15
	s_add_co_ci_u32 s15, s22, 0
	s_add_nc_u64 s[16:17], s[4:5], 0
	s_add_nc_u64 s[14:15], s[18:19], s[14:15]
	s_delay_alu instid0(SALU_CYCLE_1) | instskip(SKIP_1) | instid1(SALU_CYCLE_1)
	s_add_co_u32 s3, s12, s14
	s_cselect_b32 s11, -1, 0
	s_cmp_lg_u32 s11, 0
	s_add_co_ci_u32 s11, s13, s15
	s_xor_b64 s[12:13], s[16:17], 0
	s_mov_b32 s15, s5
	s_mul_hi_u32 s17, s12, s11
	s_mul_i32 s16, s12, s11
	s_mul_hi_u32 s18, s12, s3
	s_mul_hi_u32 s14, s13, s3
	s_mul_i32 s3, s13, s3
	s_add_nc_u64 s[16:17], s[18:19], s[16:17]
	s_mul_hi_u32 s20, s13, s11
	s_add_co_u32 s3, s16, s3
	s_add_co_ci_u32 s14, s17, s14
	s_mul_i32 s18, s13, s11
	s_add_co_ci_u32 s19, s20, 0
	s_delay_alu instid0(SALU_CYCLE_1) | instskip(NEXT) | instid1(SALU_CYCLE_1)
	s_add_nc_u64 s[14:15], s[14:15], s[18:19]
	s_and_b64 s[16:17], s[14:15], 0xffffffff00000000
	s_delay_alu instid0(SALU_CYCLE_1) | instskip(NEXT) | instid1(SALU_CYCLE_1)
	s_or_b32 s16, s16, s14
	s_mul_u64 s[14:15], s[8:9], s[16:17]
	s_delay_alu instid0(SALU_CYCLE_1)
	s_sub_co_u32 s3, s12, s14
	s_cselect_b32 s11, -1, 0
	s_sub_co_i32 s12, s13, s15
	s_cmp_lg_u32 s11, 0
	s_sub_co_ci_u32 s12, s12, s9
	s_sub_co_u32 s14, s3, s8
	s_cselect_b32 s18, -1, 0
	s_delay_alu instid0(SALU_CYCLE_1) | instskip(SKIP_2) | instid1(SALU_CYCLE_1)
	s_cmp_lg_u32 s18, 0
	s_add_nc_u64 s[18:19], s[16:17], 1
	s_sub_co_ci_u32 s12, s12, 0
	s_cmp_ge_u32 s12, s9
	s_cselect_b32 s20, -1, 0
	s_cmp_ge_u32 s14, s8
	s_cselect_b32 s14, -1, 0
	s_cmp_eq_u32 s12, s9
	s_cselect_b32 s12, s14, s20
	s_add_nc_u64 s[20:21], s[16:17], 2
	s_cmp_lg_u32 s12, 0
	s_cselect_b32 s12, s20, s18
	s_cselect_b32 s14, s21, s19
	s_cmp_lg_u32 s11, 0
	s_sub_co_ci_u32 s11, s13, s15
	s_delay_alu instid0(SALU_CYCLE_1)
	s_cmp_ge_u32 s11, s9
	s_cselect_b32 s13, -1, 0
	s_cmp_ge_u32 s3, s8
	s_cselect_b32 s3, -1, 0
	s_cmp_eq_u32 s11, s9
	s_cselect_b32 s3, s3, s13
	s_delay_alu instid0(SALU_CYCLE_1) | instskip(SKIP_3) | instid1(SALU_CYCLE_1)
	s_cmp_lg_u32 s3, 0
	s_cselect_b32 s9, s14, s17
	s_cselect_b32 s8, s12, s16
	s_xor_b64 s[6:7], 0, s[6:7]
	s_xor_b64 s[8:9], s[8:9], s[6:7]
	s_delay_alu instid0(SALU_CYCLE_1)
	s_sub_nc_u64 s[6:7], s[8:9], s[6:7]
	s_and_not1_b32 vcc_lo, exec_lo, s5
	s_cbranch_vccnz .LBB34_3
.LBB34_2:
	v_cvt_f32_u32_e32 v2, s2
	s_sub_co_i32 s5, 0, s2
	s_delay_alu instid0(VALU_DEP_1) | instskip(SKIP_1) | instid1(TRANS32_DEP_1)
	v_rcp_iflag_f32_e32 v2, v2
	v_nop
	v_mul_f32_e32 v2, 0x4f7ffffe, v2
	s_delay_alu instid0(VALU_DEP_1) | instskip(NEXT) | instid1(VALU_DEP_1)
	v_cvt_u32_f32_e32 v2, v2
	v_readfirstlane_b32 s3, v2
	s_mul_i32 s5, s5, s3
	s_delay_alu instid0(SALU_CYCLE_1) | instskip(NEXT) | instid1(SALU_CYCLE_1)
	s_mul_hi_u32 s5, s3, s5
	s_add_co_i32 s3, s3, s5
	s_delay_alu instid0(SALU_CYCLE_1) | instskip(NEXT) | instid1(SALU_CYCLE_1)
	s_mul_hi_u32 s3, s4, s3
	s_mul_i32 s5, s3, s2
	s_add_co_i32 s6, s3, 1
	s_sub_co_i32 s5, s4, s5
	s_delay_alu instid0(SALU_CYCLE_1)
	s_sub_co_i32 s7, s5, s2
	s_cmp_ge_u32 s5, s2
	s_cselect_b32 s3, s6, s3
	s_cselect_b32 s5, s7, s5
	s_add_co_i32 s6, s3, 1
	s_cmp_ge_u32 s5, s2
	s_mov_b32 s7, 0
	s_cselect_b32 s6, s6, s3
.LBB34_3:
	s_bfe_u32 s3, ttmp6, 0x40010
	s_and_b32 s5, ttmp7, 0xffff
	s_add_co_i32 s3, s3, 1
	s_bfe_u32 s8, ttmp6, 0x40004
	s_mul_i32 s3, s5, s3
	s_wait_loadcnt 0x0
	v_and_b32_e32 v1, 0xffff, v1
	s_add_co_i32 s3, s8, s3
	v_bfe_u32 v2, v0, 10, 10
	s_cmp_eq_u32 s10, 0
	s_load_b64 s[8:9], s[0:1], 0x80
	s_cselect_b32 s3, s5, s3
	s_delay_alu instid0(VALU_DEP_1) | instid1(SALU_CYCLE_1)
	v_mad_u32 v2, s3, v1, v2
	s_mov_b32 s3, exec_lo
	s_delay_alu instid0(VALU_DEP_1) | instskip(SKIP_1) | instid1(VALU_DEP_1)
	v_ashrrev_i32_e32 v3, 31, v2
	s_wait_kmcnt 0x0
	v_cmpx_gt_i64_e64 s[8:9], v[2:3]
	s_cbranch_execz .LBB34_6
; %bb.4:
	s_add_nc_u64 s[8:9], s[0:1], 0xb8
	s_bfe_u32 s5, ttmp6, 0x4000c
	s_load_b32 s3, s[8:9], 0xc
	s_add_co_i32 s5, s5, 1
	s_wait_xcnt 0x0
	s_and_b32 s8, ttmp6, 15
	s_mul_i32 s5, ttmp9, s5
	v_and_b32_e32 v0, 0x3ff, v0
	s_add_co_i32 s5, s8, s5
	s_load_b64 s[8:9], s[0:1], 0x88
	s_wait_kmcnt 0x0
	s_and_b32 s3, s3, 0xffff
	s_cmp_eq_u32 s10, 0
	s_cselect_b32 s5, ttmp9, s5
	s_delay_alu instid0(SALU_CYCLE_1) | instskip(NEXT) | instid1(VALU_DEP_1)
	v_mad_u32 v0, s5, s3, v0
	v_ashrrev_i32_e32 v1, 31, v0
	s_delay_alu instid0(VALU_DEP_1)
	v_cmp_gt_i64_e32 vcc_lo, s[8:9], v[0:1]
	s_and_b32 exec_lo, exec_lo, vcc_lo
	s_cbranch_execz .LBB34_6
; %bb.5:
	s_load_b256 s[8:15], s[0:1], 0x48
	s_mul_i32 s5, s6, s2
	s_bfe_i64 s[2:3], s[6:7], 0x200000
	s_wait_kmcnt 0x0
	v_mul_u64_e32 v[4:5], s[12:13], v[2:3]
	v_mul_u64_e32 v[6:7], s[14:15], v[0:1]
	s_load_b64 s[12:13], s[0:1], 0x20
	s_sub_co_i32 s14, s4, s5
	s_mul_u64 s[4:5], s[8:9], s[2:3]
	s_ashr_i32 s15, s14, 31
	s_lshl_b64 s[4:5], s[4:5], 3
	s_mul_u64 s[6:7], s[10:11], s[14:15]
	s_delay_alu instid0(SALU_CYCLE_1) | instskip(SKIP_2) | instid1(SALU_CYCLE_1)
	s_lshl_b64 s[6:7], s[6:7], 3
	s_wait_kmcnt 0x0
	s_add_nc_u64 s[4:5], s[12:13], s[4:5]
	s_add_nc_u64 s[4:5], s[4:5], s[6:7]
	s_delay_alu instid0(VALU_DEP_2) | instid1(SALU_CYCLE_1)
	v_lshl_add_u64 v[4:5], v[4:5], 3, s[4:5]
	s_load_b256 s[4:11], s[0:1], 0x0
	s_delay_alu instid0(VALU_DEP_1) | instskip(SKIP_3) | instid1(SALU_CYCLE_1)
	v_lshl_add_u64 v[4:5], v[6:7], 3, v[4:5]
	global_load_b64 v[4:5], v[4:5], off
	s_wait_kmcnt 0x0
	s_mul_u64 s[6:7], s[8:9], s[6:7]
	s_mul_u64 s[6:7], s[6:7], s[10:11]
	s_delay_alu instid0(SALU_CYCLE_1) | instskip(NEXT) | instid1(SALU_CYCLE_1)
	s_mul_u64 s[6:7], s[6:7], s[2:3]
	s_lshl_b64 s[6:7], s[6:7], 1
	s_delay_alu instid0(SALU_CYCLE_1)
	s_add_nc_u64 s[4:5], s[4:5], s[6:7]
	s_wait_loadcnt 0x0
	v_lshl_add_u64 v[4:5], v[4:5], 1, s[4:5]
	s_load_b256 s[4:11], s[0:1], 0x90
	global_load_u16 v4, v[4:5], off
	s_load_b64 s[0:1], s[0:1], 0x68
	s_wait_kmcnt 0x0
	v_mul_u64_e32 v[2:3], s[8:9], v[2:3]
	v_mul_u64_e32 v[0:1], s[10:11], v[0:1]
	s_mul_u64 s[2:3], s[4:5], s[2:3]
	s_mul_u64 s[4:5], s[6:7], s[14:15]
	s_lshl_b64 s[2:3], s[2:3], 1
	s_delay_alu instid0(SALU_CYCLE_1) | instskip(SKIP_1) | instid1(SALU_CYCLE_1)
	s_add_nc_u64 s[0:1], s[0:1], s[2:3]
	s_lshl_b64 s[2:3], s[4:5], 1
	s_add_nc_u64 s[0:1], s[0:1], s[2:3]
	s_delay_alu instid0(VALU_DEP_2) | instid1(SALU_CYCLE_1)
	v_lshl_add_u64 v[2:3], v[2:3], 1, s[0:1]
	s_delay_alu instid0(VALU_DEP_1)
	v_lshl_add_u64 v[0:1], v[0:1], 1, v[2:3]
	s_wait_loadcnt 0x0
	global_store_b16 v[0:1], v4, off
.LBB34_6:
	s_endpgm
.LBB34_7:
                                        ; implicit-def: $sgpr6_sgpr7
	s_branch .LBB34_2
	.section	.rodata,"a",@progbits
	.p2align	6, 0x0
	.amdhsa_kernel _ZN2at6native31max_unpooling3d_backward_kernelIN3c104HalfEEEvPKT_lllN5torch10headeronly6detail27GenericPackedTensorAccessorINS9_14TensorAccessorINS2_8ArrayRefIlEElLm3ENS8_16DefaultPtrTraitsElEENS_6detail16IndexBoundsCheckILm4ElEElLm4ESE_lEENSA_INSB_ISD_S4_Lm3ESE_lEESI_S4_Lm4ESE_lEEi
		.amdhsa_group_segment_fixed_size 0
		.amdhsa_private_segment_fixed_size 0
		.amdhsa_kernarg_size 440
		.amdhsa_user_sgpr_count 2
		.amdhsa_user_sgpr_dispatch_ptr 0
		.amdhsa_user_sgpr_queue_ptr 0
		.amdhsa_user_sgpr_kernarg_segment_ptr 1
		.amdhsa_user_sgpr_dispatch_id 0
		.amdhsa_user_sgpr_kernarg_preload_length 0
		.amdhsa_user_sgpr_kernarg_preload_offset 0
		.amdhsa_user_sgpr_private_segment_size 0
		.amdhsa_wavefront_size32 1
		.amdhsa_uses_dynamic_stack 0
		.amdhsa_enable_private_segment 0
		.amdhsa_system_sgpr_workgroup_id_x 1
		.amdhsa_system_sgpr_workgroup_id_y 1
		.amdhsa_system_sgpr_workgroup_id_z 1
		.amdhsa_system_sgpr_workgroup_info 0
		.amdhsa_system_vgpr_workitem_id 1
		.amdhsa_next_free_vgpr 8
		.amdhsa_next_free_sgpr 25
		.amdhsa_named_barrier_count 0
		.amdhsa_reserve_vcc 1
		.amdhsa_float_round_mode_32 0
		.amdhsa_float_round_mode_16_64 0
		.amdhsa_float_denorm_mode_32 3
		.amdhsa_float_denorm_mode_16_64 3
		.amdhsa_fp16_overflow 0
		.amdhsa_memory_ordered 1
		.amdhsa_forward_progress 1
		.amdhsa_inst_pref_size 10
		.amdhsa_round_robin_scheduling 0
		.amdhsa_exception_fp_ieee_invalid_op 0
		.amdhsa_exception_fp_denorm_src 0
		.amdhsa_exception_fp_ieee_div_zero 0
		.amdhsa_exception_fp_ieee_overflow 0
		.amdhsa_exception_fp_ieee_underflow 0
		.amdhsa_exception_fp_ieee_inexact 0
		.amdhsa_exception_int_div_zero 0
	.end_amdhsa_kernel
	.section	.text._ZN2at6native31max_unpooling3d_backward_kernelIN3c104HalfEEEvPKT_lllN5torch10headeronly6detail27GenericPackedTensorAccessorINS9_14TensorAccessorINS2_8ArrayRefIlEElLm3ENS8_16DefaultPtrTraitsElEENS_6detail16IndexBoundsCheckILm4ElEElLm4ESE_lEENSA_INSB_ISD_S4_Lm3ESE_lEESI_S4_Lm4ESE_lEEi,"axG",@progbits,_ZN2at6native31max_unpooling3d_backward_kernelIN3c104HalfEEEvPKT_lllN5torch10headeronly6detail27GenericPackedTensorAccessorINS9_14TensorAccessorINS2_8ArrayRefIlEElLm3ENS8_16DefaultPtrTraitsElEENS_6detail16IndexBoundsCheckILm4ElEElLm4ESE_lEENSA_INSB_ISD_S4_Lm3ESE_lEESI_S4_Lm4ESE_lEEi,comdat
.Lfunc_end34:
	.size	_ZN2at6native31max_unpooling3d_backward_kernelIN3c104HalfEEEvPKT_lllN5torch10headeronly6detail27GenericPackedTensorAccessorINS9_14TensorAccessorINS2_8ArrayRefIlEElLm3ENS8_16DefaultPtrTraitsElEENS_6detail16IndexBoundsCheckILm4ElEElLm4ESE_lEENSA_INSB_ISD_S4_Lm3ESE_lEESI_S4_Lm4ESE_lEEi, .Lfunc_end34-_ZN2at6native31max_unpooling3d_backward_kernelIN3c104HalfEEEvPKT_lllN5torch10headeronly6detail27GenericPackedTensorAccessorINS9_14TensorAccessorINS2_8ArrayRefIlEElLm3ENS8_16DefaultPtrTraitsElEENS_6detail16IndexBoundsCheckILm4ElEElLm4ESE_lEENSA_INSB_ISD_S4_Lm3ESE_lEESI_S4_Lm4ESE_lEEi
                                        ; -- End function
	.set _ZN2at6native31max_unpooling3d_backward_kernelIN3c104HalfEEEvPKT_lllN5torch10headeronly6detail27GenericPackedTensorAccessorINS9_14TensorAccessorINS2_8ArrayRefIlEElLm3ENS8_16DefaultPtrTraitsElEENS_6detail16IndexBoundsCheckILm4ElEElLm4ESE_lEENSA_INSB_ISD_S4_Lm3ESE_lEESI_S4_Lm4ESE_lEEi.num_vgpr, 8
	.set _ZN2at6native31max_unpooling3d_backward_kernelIN3c104HalfEEEvPKT_lllN5torch10headeronly6detail27GenericPackedTensorAccessorINS9_14TensorAccessorINS2_8ArrayRefIlEElLm3ENS8_16DefaultPtrTraitsElEENS_6detail16IndexBoundsCheckILm4ElEElLm4ESE_lEENSA_INSB_ISD_S4_Lm3ESE_lEESI_S4_Lm4ESE_lEEi.num_agpr, 0
	.set _ZN2at6native31max_unpooling3d_backward_kernelIN3c104HalfEEEvPKT_lllN5torch10headeronly6detail27GenericPackedTensorAccessorINS9_14TensorAccessorINS2_8ArrayRefIlEElLm3ENS8_16DefaultPtrTraitsElEENS_6detail16IndexBoundsCheckILm4ElEElLm4ESE_lEENSA_INSB_ISD_S4_Lm3ESE_lEESI_S4_Lm4ESE_lEEi.numbered_sgpr, 25
	.set _ZN2at6native31max_unpooling3d_backward_kernelIN3c104HalfEEEvPKT_lllN5torch10headeronly6detail27GenericPackedTensorAccessorINS9_14TensorAccessorINS2_8ArrayRefIlEElLm3ENS8_16DefaultPtrTraitsElEENS_6detail16IndexBoundsCheckILm4ElEElLm4ESE_lEENSA_INSB_ISD_S4_Lm3ESE_lEESI_S4_Lm4ESE_lEEi.num_named_barrier, 0
	.set _ZN2at6native31max_unpooling3d_backward_kernelIN3c104HalfEEEvPKT_lllN5torch10headeronly6detail27GenericPackedTensorAccessorINS9_14TensorAccessorINS2_8ArrayRefIlEElLm3ENS8_16DefaultPtrTraitsElEENS_6detail16IndexBoundsCheckILm4ElEElLm4ESE_lEENSA_INSB_ISD_S4_Lm3ESE_lEESI_S4_Lm4ESE_lEEi.private_seg_size, 0
	.set _ZN2at6native31max_unpooling3d_backward_kernelIN3c104HalfEEEvPKT_lllN5torch10headeronly6detail27GenericPackedTensorAccessorINS9_14TensorAccessorINS2_8ArrayRefIlEElLm3ENS8_16DefaultPtrTraitsElEENS_6detail16IndexBoundsCheckILm4ElEElLm4ESE_lEENSA_INSB_ISD_S4_Lm3ESE_lEESI_S4_Lm4ESE_lEEi.uses_vcc, 1
	.set _ZN2at6native31max_unpooling3d_backward_kernelIN3c104HalfEEEvPKT_lllN5torch10headeronly6detail27GenericPackedTensorAccessorINS9_14TensorAccessorINS2_8ArrayRefIlEElLm3ENS8_16DefaultPtrTraitsElEENS_6detail16IndexBoundsCheckILm4ElEElLm4ESE_lEENSA_INSB_ISD_S4_Lm3ESE_lEESI_S4_Lm4ESE_lEEi.uses_flat_scratch, 0
	.set _ZN2at6native31max_unpooling3d_backward_kernelIN3c104HalfEEEvPKT_lllN5torch10headeronly6detail27GenericPackedTensorAccessorINS9_14TensorAccessorINS2_8ArrayRefIlEElLm3ENS8_16DefaultPtrTraitsElEENS_6detail16IndexBoundsCheckILm4ElEElLm4ESE_lEENSA_INSB_ISD_S4_Lm3ESE_lEESI_S4_Lm4ESE_lEEi.has_dyn_sized_stack, 0
	.set _ZN2at6native31max_unpooling3d_backward_kernelIN3c104HalfEEEvPKT_lllN5torch10headeronly6detail27GenericPackedTensorAccessorINS9_14TensorAccessorINS2_8ArrayRefIlEElLm3ENS8_16DefaultPtrTraitsElEENS_6detail16IndexBoundsCheckILm4ElEElLm4ESE_lEENSA_INSB_ISD_S4_Lm3ESE_lEESI_S4_Lm4ESE_lEEi.has_recursion, 0
	.set _ZN2at6native31max_unpooling3d_backward_kernelIN3c104HalfEEEvPKT_lllN5torch10headeronly6detail27GenericPackedTensorAccessorINS9_14TensorAccessorINS2_8ArrayRefIlEElLm3ENS8_16DefaultPtrTraitsElEENS_6detail16IndexBoundsCheckILm4ElEElLm4ESE_lEENSA_INSB_ISD_S4_Lm3ESE_lEESI_S4_Lm4ESE_lEEi.has_indirect_call, 0
	.section	.AMDGPU.csdata,"",@progbits
; Kernel info:
; codeLenInByte = 1252
; TotalNumSgprs: 27
; NumVgprs: 8
; ScratchSize: 0
; MemoryBound: 0
; FloatMode: 240
; IeeeMode: 1
; LDSByteSize: 0 bytes/workgroup (compile time only)
; SGPRBlocks: 0
; VGPRBlocks: 0
; NumSGPRsForWavesPerEU: 27
; NumVGPRsForWavesPerEU: 8
; NamedBarCnt: 0
; Occupancy: 16
; WaveLimiterHint : 1
; COMPUTE_PGM_RSRC2:SCRATCH_EN: 0
; COMPUTE_PGM_RSRC2:USER_SGPR: 2
; COMPUTE_PGM_RSRC2:TRAP_HANDLER: 0
; COMPUTE_PGM_RSRC2:TGID_X_EN: 1
; COMPUTE_PGM_RSRC2:TGID_Y_EN: 1
; COMPUTE_PGM_RSRC2:TGID_Z_EN: 1
; COMPUTE_PGM_RSRC2:TIDIG_COMP_CNT: 1
	.section	.text._ZN2at6native31max_unpooling3d_backward_kernelIN3c108BFloat16EEEvPKT_lllN5torch10headeronly6detail27GenericPackedTensorAccessorINS9_14TensorAccessorINS2_8ArrayRefIlEElLm3ENS8_16DefaultPtrTraitsElEENS_6detail16IndexBoundsCheckILm4ElEElLm4ESE_lEENSA_INSB_ISD_S4_Lm3ESE_lEESI_S4_Lm4ESE_lEEi,"axG",@progbits,_ZN2at6native31max_unpooling3d_backward_kernelIN3c108BFloat16EEEvPKT_lllN5torch10headeronly6detail27GenericPackedTensorAccessorINS9_14TensorAccessorINS2_8ArrayRefIlEElLm3ENS8_16DefaultPtrTraitsElEENS_6detail16IndexBoundsCheckILm4ElEElLm4ESE_lEENSA_INSB_ISD_S4_Lm3ESE_lEESI_S4_Lm4ESE_lEEi,comdat
	.protected	_ZN2at6native31max_unpooling3d_backward_kernelIN3c108BFloat16EEEvPKT_lllN5torch10headeronly6detail27GenericPackedTensorAccessorINS9_14TensorAccessorINS2_8ArrayRefIlEElLm3ENS8_16DefaultPtrTraitsElEENS_6detail16IndexBoundsCheckILm4ElEElLm4ESE_lEENSA_INSB_ISD_S4_Lm3ESE_lEESI_S4_Lm4ESE_lEEi ; -- Begin function _ZN2at6native31max_unpooling3d_backward_kernelIN3c108BFloat16EEEvPKT_lllN5torch10headeronly6detail27GenericPackedTensorAccessorINS9_14TensorAccessorINS2_8ArrayRefIlEElLm3ENS8_16DefaultPtrTraitsElEENS_6detail16IndexBoundsCheckILm4ElEElLm4ESE_lEENSA_INSB_ISD_S4_Lm3ESE_lEESI_S4_Lm4ESE_lEEi
	.globl	_ZN2at6native31max_unpooling3d_backward_kernelIN3c108BFloat16EEEvPKT_lllN5torch10headeronly6detail27GenericPackedTensorAccessorINS9_14TensorAccessorINS2_8ArrayRefIlEElLm3ENS8_16DefaultPtrTraitsElEENS_6detail16IndexBoundsCheckILm4ElEElLm4ESE_lEENSA_INSB_ISD_S4_Lm3ESE_lEESI_S4_Lm4ESE_lEEi
	.p2align	8
	.type	_ZN2at6native31max_unpooling3d_backward_kernelIN3c108BFloat16EEEvPKT_lllN5torch10headeronly6detail27GenericPackedTensorAccessorINS9_14TensorAccessorINS2_8ArrayRefIlEElLm3ENS8_16DefaultPtrTraitsElEENS_6detail16IndexBoundsCheckILm4ElEElLm4ESE_lEENSA_INSB_ISD_S4_Lm3ESE_lEESI_S4_Lm4ESE_lEEi,@function
_ZN2at6native31max_unpooling3d_backward_kernelIN3c108BFloat16EEEvPKT_lllN5torch10headeronly6detail27GenericPackedTensorAccessorINS9_14TensorAccessorINS2_8ArrayRefIlEElLm3ENS8_16DefaultPtrTraitsElEENS_6detail16IndexBoundsCheckILm4ElEElLm4ESE_lEENSA_INSB_ISD_S4_Lm3ESE_lEESI_S4_Lm4ESE_lEEi: ; @_ZN2at6native31max_unpooling3d_backward_kernelIN3c108BFloat16EEEvPKT_lllN5torch10headeronly6detail27GenericPackedTensorAccessorINS9_14TensorAccessorINS2_8ArrayRefIlEElLm3ENS8_16DefaultPtrTraitsElEENS_6detail16IndexBoundsCheckILm4ElEElLm4ESE_lEENSA_INSB_ISD_S4_Lm3ESE_lEESI_S4_Lm4ESE_lEEi
; %bb.0:
	v_mov_b32_e32 v1, 0
	s_bfe_u32 s5, ttmp6, 0x40014
	s_lshr_b32 s6, ttmp7, 16
	s_add_co_i32 s5, s5, 1
	s_bfe_u32 s7, ttmp6, 0x40008
	global_load_u16 v1, v1, s[0:1] offset:198
	s_clause 0x1
	s_load_b64 s[2:3], s[0:1], 0x78
	s_load_b32 s4, s[0:1], 0xb0
	s_mul_i32 s5, s6, s5
	s_getreg_b32 s10, hwreg(HW_REG_IB_STS2, 6, 4)
	s_add_co_i32 s7, s7, s5
	s_cmp_eq_u32 s10, 0
	s_cselect_b32 s5, s6, s7
	s_wait_kmcnt 0x0
	s_and_b64 s[6:7], s[2:3], 0xffffffff00000000
	s_add_co_i32 s4, s4, s5
	s_cmp_lg_u64 s[6:7], 0
	s_mov_b32 s5, 0
	s_cbranch_scc0 .LBB35_7
; %bb.1:
	s_ashr_i32 s6, s3, 31
	s_mov_b32 s17, s5
	s_mov_b32 s7, s6
	;; [unrolled: 1-line block ×3, first 2 shown]
	s_add_nc_u64 s[8:9], s[2:3], s[6:7]
	s_delay_alu instid0(SALU_CYCLE_1) | instskip(NEXT) | instid1(SALU_CYCLE_1)
	s_xor_b64 s[8:9], s[8:9], s[6:7]
	s_cvt_f32_u32 s3, s8
	s_cvt_f32_u32 s11, s9
	s_sub_nc_u64 s[14:15], 0, s[8:9]
	s_delay_alu instid0(SALU_CYCLE_2) | instskip(NEXT) | instid1(SALU_CYCLE_3)
	s_fmamk_f32 s3, s11, 0x4f800000, s3
	v_s_rcp_f32 s3, s3
	s_delay_alu instid0(TRANS32_DEP_1) | instskip(NEXT) | instid1(SALU_CYCLE_3)
	s_mul_f32 s3, s3, 0x5f7ffffc
	s_mul_f32 s11, s3, 0x2f800000
	s_delay_alu instid0(SALU_CYCLE_3) | instskip(NEXT) | instid1(SALU_CYCLE_3)
	s_trunc_f32 s11, s11
	s_fmamk_f32 s3, s11, 0xcf800000, s3
	s_cvt_u32_f32 s13, s11
	s_delay_alu instid0(SALU_CYCLE_2) | instskip(NEXT) | instid1(SALU_CYCLE_3)
	s_cvt_u32_f32 s12, s3
	s_mul_u64 s[18:19], s[14:15], s[12:13]
	s_delay_alu instid0(SALU_CYCLE_1)
	s_mul_hi_u32 s23, s12, s19
	s_mul_i32 s22, s12, s19
	s_mul_hi_u32 s16, s12, s18
	s_mul_i32 s11, s13, s18
	s_add_nc_u64 s[16:17], s[16:17], s[22:23]
	s_mul_hi_u32 s3, s13, s18
	s_mul_hi_u32 s24, s13, s19
	s_add_co_u32 s11, s16, s11
	s_add_co_ci_u32 s20, s17, s3
	s_mul_i32 s18, s13, s19
	s_add_co_ci_u32 s19, s24, 0
	s_delay_alu instid0(SALU_CYCLE_1) | instskip(SKIP_3) | instid1(SALU_CYCLE_1)
	s_add_nc_u64 s[16:17], s[20:21], s[18:19]
	s_mov_b32 s19, s5
	s_add_co_u32 s12, s12, s16
	s_cselect_b32 s3, -1, 0
	s_cmp_lg_u32 s3, 0
	s_add_co_ci_u32 s13, s13, s17
	s_mov_b32 s17, s5
	s_mul_u64 s[14:15], s[14:15], s[12:13]
	s_delay_alu instid0(SALU_CYCLE_1)
	s_mul_hi_u32 s21, s12, s15
	s_mul_i32 s20, s12, s15
	s_mul_hi_u32 s16, s12, s14
	s_mul_i32 s11, s13, s14
	s_add_nc_u64 s[16:17], s[16:17], s[20:21]
	s_mul_hi_u32 s3, s13, s14
	s_mul_hi_u32 s22, s13, s15
	s_add_co_u32 s11, s16, s11
	s_add_co_ci_u32 s18, s17, s3
	s_mul_i32 s14, s13, s15
	s_add_co_ci_u32 s15, s22, 0
	s_add_nc_u64 s[16:17], s[4:5], 0
	s_add_nc_u64 s[14:15], s[18:19], s[14:15]
	s_delay_alu instid0(SALU_CYCLE_1) | instskip(SKIP_1) | instid1(SALU_CYCLE_1)
	s_add_co_u32 s3, s12, s14
	s_cselect_b32 s11, -1, 0
	s_cmp_lg_u32 s11, 0
	s_add_co_ci_u32 s11, s13, s15
	s_xor_b64 s[12:13], s[16:17], 0
	s_mov_b32 s15, s5
	s_mul_hi_u32 s17, s12, s11
	s_mul_i32 s16, s12, s11
	s_mul_hi_u32 s18, s12, s3
	s_mul_hi_u32 s14, s13, s3
	s_mul_i32 s3, s13, s3
	s_add_nc_u64 s[16:17], s[18:19], s[16:17]
	s_mul_hi_u32 s20, s13, s11
	s_add_co_u32 s3, s16, s3
	s_add_co_ci_u32 s14, s17, s14
	s_mul_i32 s18, s13, s11
	s_add_co_ci_u32 s19, s20, 0
	s_delay_alu instid0(SALU_CYCLE_1) | instskip(NEXT) | instid1(SALU_CYCLE_1)
	s_add_nc_u64 s[14:15], s[14:15], s[18:19]
	s_and_b64 s[16:17], s[14:15], 0xffffffff00000000
	s_delay_alu instid0(SALU_CYCLE_1) | instskip(NEXT) | instid1(SALU_CYCLE_1)
	s_or_b32 s16, s16, s14
	s_mul_u64 s[14:15], s[8:9], s[16:17]
	s_delay_alu instid0(SALU_CYCLE_1)
	s_sub_co_u32 s3, s12, s14
	s_cselect_b32 s11, -1, 0
	s_sub_co_i32 s12, s13, s15
	s_cmp_lg_u32 s11, 0
	s_sub_co_ci_u32 s12, s12, s9
	s_sub_co_u32 s14, s3, s8
	s_cselect_b32 s18, -1, 0
	s_delay_alu instid0(SALU_CYCLE_1) | instskip(SKIP_2) | instid1(SALU_CYCLE_1)
	s_cmp_lg_u32 s18, 0
	s_add_nc_u64 s[18:19], s[16:17], 1
	s_sub_co_ci_u32 s12, s12, 0
	s_cmp_ge_u32 s12, s9
	s_cselect_b32 s20, -1, 0
	s_cmp_ge_u32 s14, s8
	s_cselect_b32 s14, -1, 0
	s_cmp_eq_u32 s12, s9
	s_cselect_b32 s12, s14, s20
	s_add_nc_u64 s[20:21], s[16:17], 2
	s_cmp_lg_u32 s12, 0
	s_cselect_b32 s12, s20, s18
	s_cselect_b32 s14, s21, s19
	s_cmp_lg_u32 s11, 0
	s_sub_co_ci_u32 s11, s13, s15
	s_delay_alu instid0(SALU_CYCLE_1)
	s_cmp_ge_u32 s11, s9
	s_cselect_b32 s13, -1, 0
	s_cmp_ge_u32 s3, s8
	s_cselect_b32 s3, -1, 0
	s_cmp_eq_u32 s11, s9
	s_cselect_b32 s3, s3, s13
	s_delay_alu instid0(SALU_CYCLE_1) | instskip(SKIP_3) | instid1(SALU_CYCLE_1)
	s_cmp_lg_u32 s3, 0
	s_cselect_b32 s9, s14, s17
	s_cselect_b32 s8, s12, s16
	s_xor_b64 s[6:7], 0, s[6:7]
	s_xor_b64 s[8:9], s[8:9], s[6:7]
	s_delay_alu instid0(SALU_CYCLE_1)
	s_sub_nc_u64 s[6:7], s[8:9], s[6:7]
	s_and_not1_b32 vcc_lo, exec_lo, s5
	s_cbranch_vccnz .LBB35_3
.LBB35_2:
	v_cvt_f32_u32_e32 v2, s2
	s_sub_co_i32 s5, 0, s2
	s_delay_alu instid0(VALU_DEP_1) | instskip(SKIP_1) | instid1(TRANS32_DEP_1)
	v_rcp_iflag_f32_e32 v2, v2
	v_nop
	v_mul_f32_e32 v2, 0x4f7ffffe, v2
	s_delay_alu instid0(VALU_DEP_1) | instskip(NEXT) | instid1(VALU_DEP_1)
	v_cvt_u32_f32_e32 v2, v2
	v_readfirstlane_b32 s3, v2
	s_mul_i32 s5, s5, s3
	s_delay_alu instid0(SALU_CYCLE_1) | instskip(NEXT) | instid1(SALU_CYCLE_1)
	s_mul_hi_u32 s5, s3, s5
	s_add_co_i32 s3, s3, s5
	s_delay_alu instid0(SALU_CYCLE_1) | instskip(NEXT) | instid1(SALU_CYCLE_1)
	s_mul_hi_u32 s3, s4, s3
	s_mul_i32 s5, s3, s2
	s_add_co_i32 s6, s3, 1
	s_sub_co_i32 s5, s4, s5
	s_delay_alu instid0(SALU_CYCLE_1)
	s_sub_co_i32 s7, s5, s2
	s_cmp_ge_u32 s5, s2
	s_cselect_b32 s3, s6, s3
	s_cselect_b32 s5, s7, s5
	s_add_co_i32 s6, s3, 1
	s_cmp_ge_u32 s5, s2
	s_mov_b32 s7, 0
	s_cselect_b32 s6, s6, s3
.LBB35_3:
	s_bfe_u32 s3, ttmp6, 0x40010
	s_and_b32 s5, ttmp7, 0xffff
	s_add_co_i32 s3, s3, 1
	s_bfe_u32 s8, ttmp6, 0x40004
	s_mul_i32 s3, s5, s3
	s_wait_loadcnt 0x0
	v_and_b32_e32 v1, 0xffff, v1
	s_add_co_i32 s3, s8, s3
	v_bfe_u32 v2, v0, 10, 10
	s_cmp_eq_u32 s10, 0
	s_load_b64 s[8:9], s[0:1], 0x80
	s_cselect_b32 s3, s5, s3
	s_delay_alu instid0(VALU_DEP_1) | instid1(SALU_CYCLE_1)
	v_mad_u32 v2, s3, v1, v2
	s_mov_b32 s3, exec_lo
	s_delay_alu instid0(VALU_DEP_1) | instskip(SKIP_1) | instid1(VALU_DEP_1)
	v_ashrrev_i32_e32 v3, 31, v2
	s_wait_kmcnt 0x0
	v_cmpx_gt_i64_e64 s[8:9], v[2:3]
	s_cbranch_execz .LBB35_6
; %bb.4:
	s_add_nc_u64 s[8:9], s[0:1], 0xb8
	s_bfe_u32 s5, ttmp6, 0x4000c
	s_load_b32 s3, s[8:9], 0xc
	s_add_co_i32 s5, s5, 1
	s_wait_xcnt 0x0
	s_and_b32 s8, ttmp6, 15
	s_mul_i32 s5, ttmp9, s5
	v_and_b32_e32 v0, 0x3ff, v0
	s_add_co_i32 s5, s8, s5
	s_load_b64 s[8:9], s[0:1], 0x88
	s_wait_kmcnt 0x0
	s_and_b32 s3, s3, 0xffff
	s_cmp_eq_u32 s10, 0
	s_cselect_b32 s5, ttmp9, s5
	s_delay_alu instid0(SALU_CYCLE_1) | instskip(NEXT) | instid1(VALU_DEP_1)
	v_mad_u32 v0, s5, s3, v0
	v_ashrrev_i32_e32 v1, 31, v0
	s_delay_alu instid0(VALU_DEP_1)
	v_cmp_gt_i64_e32 vcc_lo, s[8:9], v[0:1]
	s_and_b32 exec_lo, exec_lo, vcc_lo
	s_cbranch_execz .LBB35_6
; %bb.5:
	s_load_b256 s[8:15], s[0:1], 0x48
	s_mul_i32 s5, s6, s2
	s_bfe_i64 s[2:3], s[6:7], 0x200000
	s_wait_kmcnt 0x0
	v_mul_u64_e32 v[4:5], s[12:13], v[2:3]
	v_mul_u64_e32 v[6:7], s[14:15], v[0:1]
	s_load_b64 s[12:13], s[0:1], 0x20
	s_sub_co_i32 s14, s4, s5
	s_mul_u64 s[4:5], s[8:9], s[2:3]
	s_ashr_i32 s15, s14, 31
	s_lshl_b64 s[4:5], s[4:5], 3
	s_mul_u64 s[6:7], s[10:11], s[14:15]
	s_delay_alu instid0(SALU_CYCLE_1) | instskip(SKIP_2) | instid1(SALU_CYCLE_1)
	s_lshl_b64 s[6:7], s[6:7], 3
	s_wait_kmcnt 0x0
	s_add_nc_u64 s[4:5], s[12:13], s[4:5]
	s_add_nc_u64 s[4:5], s[4:5], s[6:7]
	s_delay_alu instid0(VALU_DEP_2) | instid1(SALU_CYCLE_1)
	v_lshl_add_u64 v[4:5], v[4:5], 3, s[4:5]
	s_load_b256 s[4:11], s[0:1], 0x0
	s_delay_alu instid0(VALU_DEP_1) | instskip(SKIP_3) | instid1(SALU_CYCLE_1)
	v_lshl_add_u64 v[4:5], v[6:7], 3, v[4:5]
	global_load_b64 v[4:5], v[4:5], off
	s_wait_kmcnt 0x0
	s_mul_u64 s[6:7], s[8:9], s[6:7]
	s_mul_u64 s[6:7], s[6:7], s[10:11]
	s_delay_alu instid0(SALU_CYCLE_1) | instskip(NEXT) | instid1(SALU_CYCLE_1)
	s_mul_u64 s[6:7], s[6:7], s[2:3]
	s_lshl_b64 s[6:7], s[6:7], 1
	s_delay_alu instid0(SALU_CYCLE_1)
	s_add_nc_u64 s[4:5], s[4:5], s[6:7]
	s_wait_loadcnt 0x0
	v_lshl_add_u64 v[4:5], v[4:5], 1, s[4:5]
	s_load_b256 s[4:11], s[0:1], 0x90
	global_load_u16 v4, v[4:5], off
	s_load_b64 s[0:1], s[0:1], 0x68
	s_wait_kmcnt 0x0
	v_mul_u64_e32 v[2:3], s[8:9], v[2:3]
	v_mul_u64_e32 v[0:1], s[10:11], v[0:1]
	s_mul_u64 s[2:3], s[4:5], s[2:3]
	s_mul_u64 s[4:5], s[6:7], s[14:15]
	s_lshl_b64 s[2:3], s[2:3], 1
	s_delay_alu instid0(SALU_CYCLE_1) | instskip(SKIP_1) | instid1(SALU_CYCLE_1)
	s_add_nc_u64 s[0:1], s[0:1], s[2:3]
	s_lshl_b64 s[2:3], s[4:5], 1
	s_add_nc_u64 s[0:1], s[0:1], s[2:3]
	s_delay_alu instid0(VALU_DEP_2) | instid1(SALU_CYCLE_1)
	v_lshl_add_u64 v[2:3], v[2:3], 1, s[0:1]
	s_delay_alu instid0(VALU_DEP_1)
	v_lshl_add_u64 v[0:1], v[0:1], 1, v[2:3]
	s_wait_loadcnt 0x0
	global_store_b16 v[0:1], v4, off
.LBB35_6:
	s_endpgm
.LBB35_7:
                                        ; implicit-def: $sgpr6_sgpr7
	s_branch .LBB35_2
	.section	.rodata,"a",@progbits
	.p2align	6, 0x0
	.amdhsa_kernel _ZN2at6native31max_unpooling3d_backward_kernelIN3c108BFloat16EEEvPKT_lllN5torch10headeronly6detail27GenericPackedTensorAccessorINS9_14TensorAccessorINS2_8ArrayRefIlEElLm3ENS8_16DefaultPtrTraitsElEENS_6detail16IndexBoundsCheckILm4ElEElLm4ESE_lEENSA_INSB_ISD_S4_Lm3ESE_lEESI_S4_Lm4ESE_lEEi
		.amdhsa_group_segment_fixed_size 0
		.amdhsa_private_segment_fixed_size 0
		.amdhsa_kernarg_size 440
		.amdhsa_user_sgpr_count 2
		.amdhsa_user_sgpr_dispatch_ptr 0
		.amdhsa_user_sgpr_queue_ptr 0
		.amdhsa_user_sgpr_kernarg_segment_ptr 1
		.amdhsa_user_sgpr_dispatch_id 0
		.amdhsa_user_sgpr_kernarg_preload_length 0
		.amdhsa_user_sgpr_kernarg_preload_offset 0
		.amdhsa_user_sgpr_private_segment_size 0
		.amdhsa_wavefront_size32 1
		.amdhsa_uses_dynamic_stack 0
		.amdhsa_enable_private_segment 0
		.amdhsa_system_sgpr_workgroup_id_x 1
		.amdhsa_system_sgpr_workgroup_id_y 1
		.amdhsa_system_sgpr_workgroup_id_z 1
		.amdhsa_system_sgpr_workgroup_info 0
		.amdhsa_system_vgpr_workitem_id 1
		.amdhsa_next_free_vgpr 8
		.amdhsa_next_free_sgpr 25
		.amdhsa_named_barrier_count 0
		.amdhsa_reserve_vcc 1
		.amdhsa_float_round_mode_32 0
		.amdhsa_float_round_mode_16_64 0
		.amdhsa_float_denorm_mode_32 3
		.amdhsa_float_denorm_mode_16_64 3
		.amdhsa_fp16_overflow 0
		.amdhsa_memory_ordered 1
		.amdhsa_forward_progress 1
		.amdhsa_inst_pref_size 10
		.amdhsa_round_robin_scheduling 0
		.amdhsa_exception_fp_ieee_invalid_op 0
		.amdhsa_exception_fp_denorm_src 0
		.amdhsa_exception_fp_ieee_div_zero 0
		.amdhsa_exception_fp_ieee_overflow 0
		.amdhsa_exception_fp_ieee_underflow 0
		.amdhsa_exception_fp_ieee_inexact 0
		.amdhsa_exception_int_div_zero 0
	.end_amdhsa_kernel
	.section	.text._ZN2at6native31max_unpooling3d_backward_kernelIN3c108BFloat16EEEvPKT_lllN5torch10headeronly6detail27GenericPackedTensorAccessorINS9_14TensorAccessorINS2_8ArrayRefIlEElLm3ENS8_16DefaultPtrTraitsElEENS_6detail16IndexBoundsCheckILm4ElEElLm4ESE_lEENSA_INSB_ISD_S4_Lm3ESE_lEESI_S4_Lm4ESE_lEEi,"axG",@progbits,_ZN2at6native31max_unpooling3d_backward_kernelIN3c108BFloat16EEEvPKT_lllN5torch10headeronly6detail27GenericPackedTensorAccessorINS9_14TensorAccessorINS2_8ArrayRefIlEElLm3ENS8_16DefaultPtrTraitsElEENS_6detail16IndexBoundsCheckILm4ElEElLm4ESE_lEENSA_INSB_ISD_S4_Lm3ESE_lEESI_S4_Lm4ESE_lEEi,comdat
.Lfunc_end35:
	.size	_ZN2at6native31max_unpooling3d_backward_kernelIN3c108BFloat16EEEvPKT_lllN5torch10headeronly6detail27GenericPackedTensorAccessorINS9_14TensorAccessorINS2_8ArrayRefIlEElLm3ENS8_16DefaultPtrTraitsElEENS_6detail16IndexBoundsCheckILm4ElEElLm4ESE_lEENSA_INSB_ISD_S4_Lm3ESE_lEESI_S4_Lm4ESE_lEEi, .Lfunc_end35-_ZN2at6native31max_unpooling3d_backward_kernelIN3c108BFloat16EEEvPKT_lllN5torch10headeronly6detail27GenericPackedTensorAccessorINS9_14TensorAccessorINS2_8ArrayRefIlEElLm3ENS8_16DefaultPtrTraitsElEENS_6detail16IndexBoundsCheckILm4ElEElLm4ESE_lEENSA_INSB_ISD_S4_Lm3ESE_lEESI_S4_Lm4ESE_lEEi
                                        ; -- End function
	.set _ZN2at6native31max_unpooling3d_backward_kernelIN3c108BFloat16EEEvPKT_lllN5torch10headeronly6detail27GenericPackedTensorAccessorINS9_14TensorAccessorINS2_8ArrayRefIlEElLm3ENS8_16DefaultPtrTraitsElEENS_6detail16IndexBoundsCheckILm4ElEElLm4ESE_lEENSA_INSB_ISD_S4_Lm3ESE_lEESI_S4_Lm4ESE_lEEi.num_vgpr, 8
	.set _ZN2at6native31max_unpooling3d_backward_kernelIN3c108BFloat16EEEvPKT_lllN5torch10headeronly6detail27GenericPackedTensorAccessorINS9_14TensorAccessorINS2_8ArrayRefIlEElLm3ENS8_16DefaultPtrTraitsElEENS_6detail16IndexBoundsCheckILm4ElEElLm4ESE_lEENSA_INSB_ISD_S4_Lm3ESE_lEESI_S4_Lm4ESE_lEEi.num_agpr, 0
	.set _ZN2at6native31max_unpooling3d_backward_kernelIN3c108BFloat16EEEvPKT_lllN5torch10headeronly6detail27GenericPackedTensorAccessorINS9_14TensorAccessorINS2_8ArrayRefIlEElLm3ENS8_16DefaultPtrTraitsElEENS_6detail16IndexBoundsCheckILm4ElEElLm4ESE_lEENSA_INSB_ISD_S4_Lm3ESE_lEESI_S4_Lm4ESE_lEEi.numbered_sgpr, 25
	.set _ZN2at6native31max_unpooling3d_backward_kernelIN3c108BFloat16EEEvPKT_lllN5torch10headeronly6detail27GenericPackedTensorAccessorINS9_14TensorAccessorINS2_8ArrayRefIlEElLm3ENS8_16DefaultPtrTraitsElEENS_6detail16IndexBoundsCheckILm4ElEElLm4ESE_lEENSA_INSB_ISD_S4_Lm3ESE_lEESI_S4_Lm4ESE_lEEi.num_named_barrier, 0
	.set _ZN2at6native31max_unpooling3d_backward_kernelIN3c108BFloat16EEEvPKT_lllN5torch10headeronly6detail27GenericPackedTensorAccessorINS9_14TensorAccessorINS2_8ArrayRefIlEElLm3ENS8_16DefaultPtrTraitsElEENS_6detail16IndexBoundsCheckILm4ElEElLm4ESE_lEENSA_INSB_ISD_S4_Lm3ESE_lEESI_S4_Lm4ESE_lEEi.private_seg_size, 0
	.set _ZN2at6native31max_unpooling3d_backward_kernelIN3c108BFloat16EEEvPKT_lllN5torch10headeronly6detail27GenericPackedTensorAccessorINS9_14TensorAccessorINS2_8ArrayRefIlEElLm3ENS8_16DefaultPtrTraitsElEENS_6detail16IndexBoundsCheckILm4ElEElLm4ESE_lEENSA_INSB_ISD_S4_Lm3ESE_lEESI_S4_Lm4ESE_lEEi.uses_vcc, 1
	.set _ZN2at6native31max_unpooling3d_backward_kernelIN3c108BFloat16EEEvPKT_lllN5torch10headeronly6detail27GenericPackedTensorAccessorINS9_14TensorAccessorINS2_8ArrayRefIlEElLm3ENS8_16DefaultPtrTraitsElEENS_6detail16IndexBoundsCheckILm4ElEElLm4ESE_lEENSA_INSB_ISD_S4_Lm3ESE_lEESI_S4_Lm4ESE_lEEi.uses_flat_scratch, 0
	.set _ZN2at6native31max_unpooling3d_backward_kernelIN3c108BFloat16EEEvPKT_lllN5torch10headeronly6detail27GenericPackedTensorAccessorINS9_14TensorAccessorINS2_8ArrayRefIlEElLm3ENS8_16DefaultPtrTraitsElEENS_6detail16IndexBoundsCheckILm4ElEElLm4ESE_lEENSA_INSB_ISD_S4_Lm3ESE_lEESI_S4_Lm4ESE_lEEi.has_dyn_sized_stack, 0
	.set _ZN2at6native31max_unpooling3d_backward_kernelIN3c108BFloat16EEEvPKT_lllN5torch10headeronly6detail27GenericPackedTensorAccessorINS9_14TensorAccessorINS2_8ArrayRefIlEElLm3ENS8_16DefaultPtrTraitsElEENS_6detail16IndexBoundsCheckILm4ElEElLm4ESE_lEENSA_INSB_ISD_S4_Lm3ESE_lEESI_S4_Lm4ESE_lEEi.has_recursion, 0
	.set _ZN2at6native31max_unpooling3d_backward_kernelIN3c108BFloat16EEEvPKT_lllN5torch10headeronly6detail27GenericPackedTensorAccessorINS9_14TensorAccessorINS2_8ArrayRefIlEElLm3ENS8_16DefaultPtrTraitsElEENS_6detail16IndexBoundsCheckILm4ElEElLm4ESE_lEENSA_INSB_ISD_S4_Lm3ESE_lEESI_S4_Lm4ESE_lEEi.has_indirect_call, 0
	.section	.AMDGPU.csdata,"",@progbits
; Kernel info:
; codeLenInByte = 1252
; TotalNumSgprs: 27
; NumVgprs: 8
; ScratchSize: 0
; MemoryBound: 0
; FloatMode: 240
; IeeeMode: 1
; LDSByteSize: 0 bytes/workgroup (compile time only)
; SGPRBlocks: 0
; VGPRBlocks: 0
; NumSGPRsForWavesPerEU: 27
; NumVGPRsForWavesPerEU: 8
; NamedBarCnt: 0
; Occupancy: 16
; WaveLimiterHint : 1
; COMPUTE_PGM_RSRC2:SCRATCH_EN: 0
; COMPUTE_PGM_RSRC2:USER_SGPR: 2
; COMPUTE_PGM_RSRC2:TRAP_HANDLER: 0
; COMPUTE_PGM_RSRC2:TGID_X_EN: 1
; COMPUTE_PGM_RSRC2:TGID_Y_EN: 1
; COMPUTE_PGM_RSRC2:TGID_Z_EN: 1
; COMPUTE_PGM_RSRC2:TIDIG_COMP_CNT: 1
	.section	.AMDGPU.gpr_maximums,"",@progbits
	.set amdgpu.max_num_vgpr, 0
	.set amdgpu.max_num_agpr, 0
	.set amdgpu.max_num_sgpr, 0
	.section	.AMDGPU.csdata,"",@progbits
	.type	__hip_cuid_6c410ee788851d45,@object ; @__hip_cuid_6c410ee788851d45
	.section	.bss,"aw",@nobits
	.globl	__hip_cuid_6c410ee788851d45
__hip_cuid_6c410ee788851d45:
	.byte	0                               ; 0x0
	.size	__hip_cuid_6c410ee788851d45, 1

	.ident	"AMD clang version 22.0.0git (https://github.com/RadeonOpenCompute/llvm-project roc-7.2.4 26084 f58b06dce1f9c15707c5f808fd002e18c2accf7e)"
	.section	".note.GNU-stack","",@progbits
	.addrsig
	.addrsig_sym __hip_cuid_6c410ee788851d45
	.amdgpu_metadata
---
amdhsa.kernels:
  - .args:
      - .offset:         0
        .size:           8
        .value_kind:     by_value
      - .address_space:  global
        .offset:         8
        .size:           8
        .value_kind:     global_buffer
      - .address_space:  global
        .offset:         16
        .size:           8
        .value_kind:     global_buffer
      - .offset:         24
        .size:           8
        .value_kind:     by_value
      - .offset:         32
        .size:           8
        .value_kind:     by_value
      - .offset:         40
        .size:           8
        .value_kind:     by_value
      - .offset:         48
        .size:           8
        .value_kind:     by_value
      - .offset:         56
        .size:           8
        .value_kind:     by_value
      - .address_space:  global
        .offset:         64
        .size:           8
        .value_kind:     global_buffer
      - .offset:         72
        .size:           4
        .value_kind:     hidden_block_count_x
      - .offset:         76
        .size:           4
        .value_kind:     hidden_block_count_y
      - .offset:         80
        .size:           4
        .value_kind:     hidden_block_count_z
      - .offset:         84
        .size:           2
        .value_kind:     hidden_group_size_x
      - .offset:         86
        .size:           2
        .value_kind:     hidden_group_size_y
      - .offset:         88
        .size:           2
        .value_kind:     hidden_group_size_z
      - .offset:         90
        .size:           2
        .value_kind:     hidden_remainder_x
      - .offset:         92
        .size:           2
        .value_kind:     hidden_remainder_y
      - .offset:         94
        .size:           2
        .value_kind:     hidden_remainder_z
      - .offset:         112
        .size:           8
        .value_kind:     hidden_global_offset_x
      - .offset:         120
        .size:           8
        .value_kind:     hidden_global_offset_y
      - .offset:         128
        .size:           8
        .value_kind:     hidden_global_offset_z
      - .offset:         136
        .size:           2
        .value_kind:     hidden_grid_dims
    .group_segment_fixed_size: 0
    .kernarg_segment_align: 8
    .kernarg_segment_size: 328
    .language:       OpenCL C
    .language_version:
      - 2
      - 0
    .max_flat_workgroup_size: 1024
    .name:           _ZN2at6native30max_unpooling2d_forward_kernelIhEEvlPKT_PKllllllPS2_
    .private_segment_fixed_size: 0
    .sgpr_count:     48
    .sgpr_spill_count: 0
    .symbol:         _ZN2at6native30max_unpooling2d_forward_kernelIhEEvlPKT_PKllllllPS2_.kd
    .uniform_work_group_size: 1
    .uses_dynamic_stack: false
    .vgpr_count:     30
    .vgpr_spill_count: 0
    .wavefront_size: 32
  - .args:
      - .offset:         0
        .size:           8
        .value_kind:     by_value
      - .address_space:  global
        .offset:         8
        .size:           8
        .value_kind:     global_buffer
      - .address_space:  global
        .offset:         16
        .size:           8
        .value_kind:     global_buffer
      - .offset:         24
        .size:           8
        .value_kind:     by_value
      - .offset:         32
        .size:           8
        .value_kind:     by_value
      - .offset:         40
        .size:           8
        .value_kind:     by_value
      - .offset:         48
        .size:           8
        .value_kind:     by_value
      - .offset:         56
        .size:           8
        .value_kind:     by_value
      - .address_space:  global
        .offset:         64
        .size:           8
        .value_kind:     global_buffer
      - .offset:         72
        .size:           4
        .value_kind:     hidden_block_count_x
      - .offset:         76
        .size:           4
        .value_kind:     hidden_block_count_y
      - .offset:         80
        .size:           4
        .value_kind:     hidden_block_count_z
      - .offset:         84
        .size:           2
        .value_kind:     hidden_group_size_x
      - .offset:         86
        .size:           2
        .value_kind:     hidden_group_size_y
      - .offset:         88
        .size:           2
        .value_kind:     hidden_group_size_z
      - .offset:         90
        .size:           2
        .value_kind:     hidden_remainder_x
      - .offset:         92
        .size:           2
        .value_kind:     hidden_remainder_y
      - .offset:         94
        .size:           2
        .value_kind:     hidden_remainder_z
      - .offset:         112
        .size:           8
        .value_kind:     hidden_global_offset_x
      - .offset:         120
        .size:           8
        .value_kind:     hidden_global_offset_y
      - .offset:         128
        .size:           8
        .value_kind:     hidden_global_offset_z
      - .offset:         136
        .size:           2
        .value_kind:     hidden_grid_dims
    .group_segment_fixed_size: 0
    .kernarg_segment_align: 8
    .kernarg_segment_size: 328
    .language:       OpenCL C
    .language_version:
      - 2
      - 0
    .max_flat_workgroup_size: 1024
    .name:           _ZN2at6native30max_unpooling2d_forward_kernelIaEEvlPKT_PKllllllPS2_
    .private_segment_fixed_size: 0
    .sgpr_count:     48
    .sgpr_spill_count: 0
    .symbol:         _ZN2at6native30max_unpooling2d_forward_kernelIaEEvlPKT_PKllllllPS2_.kd
    .uniform_work_group_size: 1
    .uses_dynamic_stack: false
    .vgpr_count:     30
    .vgpr_spill_count: 0
    .wavefront_size: 32
  - .args:
      - .offset:         0
        .size:           8
        .value_kind:     by_value
      - .address_space:  global
        .offset:         8
        .size:           8
        .value_kind:     global_buffer
      - .address_space:  global
        .offset:         16
        .size:           8
        .value_kind:     global_buffer
      - .offset:         24
        .size:           8
        .value_kind:     by_value
      - .offset:         32
        .size:           8
        .value_kind:     by_value
      - .offset:         40
        .size:           8
        .value_kind:     by_value
      - .offset:         48
        .size:           8
        .value_kind:     by_value
      - .offset:         56
        .size:           8
        .value_kind:     by_value
      - .address_space:  global
        .offset:         64
        .size:           8
        .value_kind:     global_buffer
      - .offset:         72
        .size:           4
        .value_kind:     hidden_block_count_x
      - .offset:         76
        .size:           4
        .value_kind:     hidden_block_count_y
      - .offset:         80
        .size:           4
        .value_kind:     hidden_block_count_z
      - .offset:         84
        .size:           2
        .value_kind:     hidden_group_size_x
      - .offset:         86
        .size:           2
        .value_kind:     hidden_group_size_y
      - .offset:         88
        .size:           2
        .value_kind:     hidden_group_size_z
      - .offset:         90
        .size:           2
        .value_kind:     hidden_remainder_x
      - .offset:         92
        .size:           2
        .value_kind:     hidden_remainder_y
      - .offset:         94
        .size:           2
        .value_kind:     hidden_remainder_z
      - .offset:         112
        .size:           8
        .value_kind:     hidden_global_offset_x
      - .offset:         120
        .size:           8
        .value_kind:     hidden_global_offset_y
      - .offset:         128
        .size:           8
        .value_kind:     hidden_global_offset_z
      - .offset:         136
        .size:           2
        .value_kind:     hidden_grid_dims
    .group_segment_fixed_size: 0
    .kernarg_segment_align: 8
    .kernarg_segment_size: 328
    .language:       OpenCL C
    .language_version:
      - 2
      - 0
    .max_flat_workgroup_size: 1024
    .name:           _ZN2at6native30max_unpooling2d_forward_kernelIiEEvlPKT_PKllllllPS2_
    .private_segment_fixed_size: 0
    .sgpr_count:     48
    .sgpr_spill_count: 0
    .symbol:         _ZN2at6native30max_unpooling2d_forward_kernelIiEEvlPKT_PKllllllPS2_.kd
    .uniform_work_group_size: 1
    .uses_dynamic_stack: false
    .vgpr_count:     30
    .vgpr_spill_count: 0
    .wavefront_size: 32
  - .args:
      - .offset:         0
        .size:           8
        .value_kind:     by_value
      - .address_space:  global
        .offset:         8
        .size:           8
        .value_kind:     global_buffer
      - .address_space:  global
        .offset:         16
        .size:           8
        .value_kind:     global_buffer
      - .offset:         24
        .size:           8
        .value_kind:     by_value
      - .offset:         32
        .size:           8
        .value_kind:     by_value
      - .offset:         40
        .size:           8
        .value_kind:     by_value
      - .offset:         48
        .size:           8
        .value_kind:     by_value
      - .offset:         56
        .size:           8
        .value_kind:     by_value
      - .address_space:  global
        .offset:         64
        .size:           8
        .value_kind:     global_buffer
      - .offset:         72
        .size:           4
        .value_kind:     hidden_block_count_x
      - .offset:         76
        .size:           4
        .value_kind:     hidden_block_count_y
      - .offset:         80
        .size:           4
        .value_kind:     hidden_block_count_z
      - .offset:         84
        .size:           2
        .value_kind:     hidden_group_size_x
      - .offset:         86
        .size:           2
        .value_kind:     hidden_group_size_y
      - .offset:         88
        .size:           2
        .value_kind:     hidden_group_size_z
      - .offset:         90
        .size:           2
        .value_kind:     hidden_remainder_x
      - .offset:         92
        .size:           2
        .value_kind:     hidden_remainder_y
      - .offset:         94
        .size:           2
        .value_kind:     hidden_remainder_z
      - .offset:         112
        .size:           8
        .value_kind:     hidden_global_offset_x
      - .offset:         120
        .size:           8
        .value_kind:     hidden_global_offset_y
      - .offset:         128
        .size:           8
        .value_kind:     hidden_global_offset_z
      - .offset:         136
        .size:           2
        .value_kind:     hidden_grid_dims
    .group_segment_fixed_size: 0
    .kernarg_segment_align: 8
    .kernarg_segment_size: 328
    .language:       OpenCL C
    .language_version:
      - 2
      - 0
    .max_flat_workgroup_size: 1024
    .name:           _ZN2at6native30max_unpooling2d_forward_kernelIlEEvlPKT_PKllllllPS2_
    .private_segment_fixed_size: 0
    .sgpr_count:     48
    .sgpr_spill_count: 0
    .symbol:         _ZN2at6native30max_unpooling2d_forward_kernelIlEEvlPKT_PKllllllPS2_.kd
    .uniform_work_group_size: 1
    .uses_dynamic_stack: false
    .vgpr_count:     30
    .vgpr_spill_count: 0
    .wavefront_size: 32
  - .args:
      - .offset:         0
        .size:           8
        .value_kind:     by_value
      - .address_space:  global
        .offset:         8
        .size:           8
        .value_kind:     global_buffer
      - .address_space:  global
        .offset:         16
        .size:           8
        .value_kind:     global_buffer
      - .offset:         24
        .size:           8
        .value_kind:     by_value
      - .offset:         32
        .size:           8
        .value_kind:     by_value
      - .offset:         40
        .size:           8
        .value_kind:     by_value
      - .offset:         48
        .size:           8
        .value_kind:     by_value
      - .offset:         56
        .size:           8
        .value_kind:     by_value
      - .address_space:  global
        .offset:         64
        .size:           8
        .value_kind:     global_buffer
      - .offset:         72
        .size:           4
        .value_kind:     hidden_block_count_x
      - .offset:         76
        .size:           4
        .value_kind:     hidden_block_count_y
      - .offset:         80
        .size:           4
        .value_kind:     hidden_block_count_z
      - .offset:         84
        .size:           2
        .value_kind:     hidden_group_size_x
      - .offset:         86
        .size:           2
        .value_kind:     hidden_group_size_y
      - .offset:         88
        .size:           2
        .value_kind:     hidden_group_size_z
      - .offset:         90
        .size:           2
        .value_kind:     hidden_remainder_x
      - .offset:         92
        .size:           2
        .value_kind:     hidden_remainder_y
      - .offset:         94
        .size:           2
        .value_kind:     hidden_remainder_z
      - .offset:         112
        .size:           8
        .value_kind:     hidden_global_offset_x
      - .offset:         120
        .size:           8
        .value_kind:     hidden_global_offset_y
      - .offset:         128
        .size:           8
        .value_kind:     hidden_global_offset_z
      - .offset:         136
        .size:           2
        .value_kind:     hidden_grid_dims
    .group_segment_fixed_size: 0
    .kernarg_segment_align: 8
    .kernarg_segment_size: 328
    .language:       OpenCL C
    .language_version:
      - 2
      - 0
    .max_flat_workgroup_size: 1024
    .name:           _ZN2at6native30max_unpooling2d_forward_kernelIsEEvlPKT_PKllllllPS2_
    .private_segment_fixed_size: 0
    .sgpr_count:     48
    .sgpr_spill_count: 0
    .symbol:         _ZN2at6native30max_unpooling2d_forward_kernelIsEEvlPKT_PKllllllPS2_.kd
    .uniform_work_group_size: 1
    .uses_dynamic_stack: false
    .vgpr_count:     30
    .vgpr_spill_count: 0
    .wavefront_size: 32
  - .args:
      - .offset:         0
        .size:           8
        .value_kind:     by_value
      - .address_space:  global
        .offset:         8
        .size:           8
        .value_kind:     global_buffer
      - .address_space:  global
        .offset:         16
        .size:           8
        .value_kind:     global_buffer
      - .offset:         24
        .size:           8
        .value_kind:     by_value
      - .offset:         32
        .size:           8
        .value_kind:     by_value
      - .offset:         40
        .size:           8
        .value_kind:     by_value
      - .offset:         48
        .size:           8
        .value_kind:     by_value
      - .offset:         56
        .size:           8
        .value_kind:     by_value
      - .address_space:  global
        .offset:         64
        .size:           8
        .value_kind:     global_buffer
      - .offset:         72
        .size:           4
        .value_kind:     hidden_block_count_x
      - .offset:         76
        .size:           4
        .value_kind:     hidden_block_count_y
      - .offset:         80
        .size:           4
        .value_kind:     hidden_block_count_z
      - .offset:         84
        .size:           2
        .value_kind:     hidden_group_size_x
      - .offset:         86
        .size:           2
        .value_kind:     hidden_group_size_y
      - .offset:         88
        .size:           2
        .value_kind:     hidden_group_size_z
      - .offset:         90
        .size:           2
        .value_kind:     hidden_remainder_x
      - .offset:         92
        .size:           2
        .value_kind:     hidden_remainder_y
      - .offset:         94
        .size:           2
        .value_kind:     hidden_remainder_z
      - .offset:         112
        .size:           8
        .value_kind:     hidden_global_offset_x
      - .offset:         120
        .size:           8
        .value_kind:     hidden_global_offset_y
      - .offset:         128
        .size:           8
        .value_kind:     hidden_global_offset_z
      - .offset:         136
        .size:           2
        .value_kind:     hidden_grid_dims
    .group_segment_fixed_size: 0
    .kernarg_segment_align: 8
    .kernarg_segment_size: 328
    .language:       OpenCL C
    .language_version:
      - 2
      - 0
    .max_flat_workgroup_size: 1024
    .name:           _ZN2at6native30max_unpooling2d_forward_kernelIdEEvlPKT_PKllllllPS2_
    .private_segment_fixed_size: 0
    .sgpr_count:     48
    .sgpr_spill_count: 0
    .symbol:         _ZN2at6native30max_unpooling2d_forward_kernelIdEEvlPKT_PKllllllPS2_.kd
    .uniform_work_group_size: 1
    .uses_dynamic_stack: false
    .vgpr_count:     30
    .vgpr_spill_count: 0
    .wavefront_size: 32
  - .args:
      - .offset:         0
        .size:           8
        .value_kind:     by_value
      - .address_space:  global
        .offset:         8
        .size:           8
        .value_kind:     global_buffer
      - .address_space:  global
        .offset:         16
        .size:           8
        .value_kind:     global_buffer
      - .offset:         24
        .size:           8
        .value_kind:     by_value
      - .offset:         32
        .size:           8
        .value_kind:     by_value
      - .offset:         40
        .size:           8
        .value_kind:     by_value
      - .offset:         48
        .size:           8
        .value_kind:     by_value
      - .offset:         56
        .size:           8
        .value_kind:     by_value
      - .address_space:  global
        .offset:         64
        .size:           8
        .value_kind:     global_buffer
      - .offset:         72
        .size:           4
        .value_kind:     hidden_block_count_x
      - .offset:         76
        .size:           4
        .value_kind:     hidden_block_count_y
      - .offset:         80
        .size:           4
        .value_kind:     hidden_block_count_z
      - .offset:         84
        .size:           2
        .value_kind:     hidden_group_size_x
      - .offset:         86
        .size:           2
        .value_kind:     hidden_group_size_y
      - .offset:         88
        .size:           2
        .value_kind:     hidden_group_size_z
      - .offset:         90
        .size:           2
        .value_kind:     hidden_remainder_x
      - .offset:         92
        .size:           2
        .value_kind:     hidden_remainder_y
      - .offset:         94
        .size:           2
        .value_kind:     hidden_remainder_z
      - .offset:         112
        .size:           8
        .value_kind:     hidden_global_offset_x
      - .offset:         120
        .size:           8
        .value_kind:     hidden_global_offset_y
      - .offset:         128
        .size:           8
        .value_kind:     hidden_global_offset_z
      - .offset:         136
        .size:           2
        .value_kind:     hidden_grid_dims
    .group_segment_fixed_size: 0
    .kernarg_segment_align: 8
    .kernarg_segment_size: 328
    .language:       OpenCL C
    .language_version:
      - 2
      - 0
    .max_flat_workgroup_size: 1024
    .name:           _ZN2at6native30max_unpooling2d_forward_kernelIfEEvlPKT_PKllllllPS2_
    .private_segment_fixed_size: 0
    .sgpr_count:     48
    .sgpr_spill_count: 0
    .symbol:         _ZN2at6native30max_unpooling2d_forward_kernelIfEEvlPKT_PKllllllPS2_.kd
    .uniform_work_group_size: 1
    .uses_dynamic_stack: false
    .vgpr_count:     30
    .vgpr_spill_count: 0
    .wavefront_size: 32
  - .args:
      - .offset:         0
        .size:           8
        .value_kind:     by_value
      - .address_space:  global
        .offset:         8
        .size:           8
        .value_kind:     global_buffer
      - .address_space:  global
        .offset:         16
        .size:           8
        .value_kind:     global_buffer
      - .offset:         24
        .size:           8
        .value_kind:     by_value
      - .offset:         32
        .size:           8
        .value_kind:     by_value
      - .offset:         40
        .size:           8
        .value_kind:     by_value
      - .offset:         48
        .size:           8
        .value_kind:     by_value
      - .offset:         56
        .size:           8
        .value_kind:     by_value
      - .address_space:  global
        .offset:         64
        .size:           8
        .value_kind:     global_buffer
      - .offset:         72
        .size:           4
        .value_kind:     hidden_block_count_x
      - .offset:         76
        .size:           4
        .value_kind:     hidden_block_count_y
      - .offset:         80
        .size:           4
        .value_kind:     hidden_block_count_z
      - .offset:         84
        .size:           2
        .value_kind:     hidden_group_size_x
      - .offset:         86
        .size:           2
        .value_kind:     hidden_group_size_y
      - .offset:         88
        .size:           2
        .value_kind:     hidden_group_size_z
      - .offset:         90
        .size:           2
        .value_kind:     hidden_remainder_x
      - .offset:         92
        .size:           2
        .value_kind:     hidden_remainder_y
      - .offset:         94
        .size:           2
        .value_kind:     hidden_remainder_z
      - .offset:         112
        .size:           8
        .value_kind:     hidden_global_offset_x
      - .offset:         120
        .size:           8
        .value_kind:     hidden_global_offset_y
      - .offset:         128
        .size:           8
        .value_kind:     hidden_global_offset_z
      - .offset:         136
        .size:           2
        .value_kind:     hidden_grid_dims
    .group_segment_fixed_size: 0
    .kernarg_segment_align: 8
    .kernarg_segment_size: 328
    .language:       OpenCL C
    .language_version:
      - 2
      - 0
    .max_flat_workgroup_size: 1024
    .name:           _ZN2at6native30max_unpooling2d_forward_kernelIN3c104HalfEEEvlPKT_PKllllllPS4_
    .private_segment_fixed_size: 0
    .sgpr_count:     48
    .sgpr_spill_count: 0
    .symbol:         _ZN2at6native30max_unpooling2d_forward_kernelIN3c104HalfEEEvlPKT_PKllllllPS4_.kd
    .uniform_work_group_size: 1
    .uses_dynamic_stack: false
    .vgpr_count:     30
    .vgpr_spill_count: 0
    .wavefront_size: 32
  - .args:
      - .offset:         0
        .size:           8
        .value_kind:     by_value
      - .address_space:  global
        .offset:         8
        .size:           8
        .value_kind:     global_buffer
      - .address_space:  global
        .offset:         16
        .size:           8
        .value_kind:     global_buffer
      - .offset:         24
        .size:           8
        .value_kind:     by_value
      - .offset:         32
        .size:           8
        .value_kind:     by_value
      - .offset:         40
        .size:           8
        .value_kind:     by_value
      - .offset:         48
        .size:           8
        .value_kind:     by_value
      - .offset:         56
        .size:           8
        .value_kind:     by_value
      - .address_space:  global
        .offset:         64
        .size:           8
        .value_kind:     global_buffer
      - .offset:         72
        .size:           4
        .value_kind:     hidden_block_count_x
      - .offset:         76
        .size:           4
        .value_kind:     hidden_block_count_y
      - .offset:         80
        .size:           4
        .value_kind:     hidden_block_count_z
      - .offset:         84
        .size:           2
        .value_kind:     hidden_group_size_x
      - .offset:         86
        .size:           2
        .value_kind:     hidden_group_size_y
      - .offset:         88
        .size:           2
        .value_kind:     hidden_group_size_z
      - .offset:         90
        .size:           2
        .value_kind:     hidden_remainder_x
      - .offset:         92
        .size:           2
        .value_kind:     hidden_remainder_y
      - .offset:         94
        .size:           2
        .value_kind:     hidden_remainder_z
      - .offset:         112
        .size:           8
        .value_kind:     hidden_global_offset_x
      - .offset:         120
        .size:           8
        .value_kind:     hidden_global_offset_y
      - .offset:         128
        .size:           8
        .value_kind:     hidden_global_offset_z
      - .offset:         136
        .size:           2
        .value_kind:     hidden_grid_dims
    .group_segment_fixed_size: 0
    .kernarg_segment_align: 8
    .kernarg_segment_size: 328
    .language:       OpenCL C
    .language_version:
      - 2
      - 0
    .max_flat_workgroup_size: 1024
    .name:           _ZN2at6native30max_unpooling2d_forward_kernelIN3c108BFloat16EEEvlPKT_PKllllllPS4_
    .private_segment_fixed_size: 0
    .sgpr_count:     48
    .sgpr_spill_count: 0
    .symbol:         _ZN2at6native30max_unpooling2d_forward_kernelIN3c108BFloat16EEEvlPKT_PKllllllPS4_.kd
    .uniform_work_group_size: 1
    .uses_dynamic_stack: false
    .vgpr_count:     30
    .vgpr_spill_count: 0
    .wavefront_size: 32
  - .args:
      - .offset:         0
        .size:           72
        .value_kind:     by_value
      - .offset:         72
        .size:           72
        .value_kind:     by_value
      - .address_space:  global
        .offset:         144
        .size:           8
        .value_kind:     global_buffer
      - .offset:         152
        .size:           8
        .value_kind:     by_value
      - .offset:         160
        .size:           8
        .value_kind:     by_value
      - .offset:         168
        .size:           8
        .value_kind:     by_value
      - .offset:         176
        .size:           8
        .value_kind:     by_value
      - .offset:         184
        .size:           4
        .value_kind:     hidden_block_count_x
      - .offset:         188
        .size:           4
        .value_kind:     hidden_block_count_y
      - .offset:         192
        .size:           4
        .value_kind:     hidden_block_count_z
      - .offset:         196
        .size:           2
        .value_kind:     hidden_group_size_x
      - .offset:         198
        .size:           2
        .value_kind:     hidden_group_size_y
      - .offset:         200
        .size:           2
        .value_kind:     hidden_group_size_z
      - .offset:         202
        .size:           2
        .value_kind:     hidden_remainder_x
      - .offset:         204
        .size:           2
        .value_kind:     hidden_remainder_y
      - .offset:         206
        .size:           2
        .value_kind:     hidden_remainder_z
      - .offset:         224
        .size:           8
        .value_kind:     hidden_global_offset_x
      - .offset:         232
        .size:           8
        .value_kind:     hidden_global_offset_y
      - .offset:         240
        .size:           8
        .value_kind:     hidden_global_offset_z
      - .offset:         248
        .size:           2
        .value_kind:     hidden_grid_dims
    .group_segment_fixed_size: 0
    .kernarg_segment_align: 8
    .kernarg_segment_size: 440
    .language:       OpenCL C
    .language_version:
      - 2
      - 0
    .max_flat_workgroup_size: 1024
    .name:           _ZN2at6native30max_unpooling3d_forward_kernelIhEEvN5torch10headeronly6detail27GenericPackedTensorAccessorINS4_14TensorAccessorIN3c108ArrayRefIlEEKT_Lm3ENS3_16DefaultPtrTraitsElEENS_6detail16IndexBoundsCheckILm4ElEESB_Lm4ESC_lEENS5_INS6_IS9_KlLm3ESC_lEESG_SI_Lm4ESC_lEEPSA_llll
    .private_segment_fixed_size: 0
    .sgpr_count:     28
    .sgpr_spill_count: 0
    .symbol:         _ZN2at6native30max_unpooling3d_forward_kernelIhEEvN5torch10headeronly6detail27GenericPackedTensorAccessorINS4_14TensorAccessorIN3c108ArrayRefIlEEKT_Lm3ENS3_16DefaultPtrTraitsElEENS_6detail16IndexBoundsCheckILm4ElEESB_Lm4ESC_lEENS5_INS6_IS9_KlLm3ESC_lEESG_SI_Lm4ESC_lEEPSA_llll.kd
    .uniform_work_group_size: 1
    .uses_dynamic_stack: false
    .vgpr_count:     8
    .vgpr_spill_count: 0
    .wavefront_size: 32
  - .args:
      - .offset:         0
        .size:           72
        .value_kind:     by_value
      - .offset:         72
        .size:           72
        .value_kind:     by_value
      - .address_space:  global
        .offset:         144
        .size:           8
        .value_kind:     global_buffer
      - .offset:         152
        .size:           8
        .value_kind:     by_value
      - .offset:         160
        .size:           8
        .value_kind:     by_value
      - .offset:         168
        .size:           8
        .value_kind:     by_value
      - .offset:         176
        .size:           8
        .value_kind:     by_value
      - .offset:         184
        .size:           4
        .value_kind:     hidden_block_count_x
      - .offset:         188
        .size:           4
        .value_kind:     hidden_block_count_y
      - .offset:         192
        .size:           4
        .value_kind:     hidden_block_count_z
      - .offset:         196
        .size:           2
        .value_kind:     hidden_group_size_x
      - .offset:         198
        .size:           2
        .value_kind:     hidden_group_size_y
      - .offset:         200
        .size:           2
        .value_kind:     hidden_group_size_z
      - .offset:         202
        .size:           2
        .value_kind:     hidden_remainder_x
      - .offset:         204
        .size:           2
        .value_kind:     hidden_remainder_y
      - .offset:         206
        .size:           2
        .value_kind:     hidden_remainder_z
      - .offset:         224
        .size:           8
        .value_kind:     hidden_global_offset_x
      - .offset:         232
        .size:           8
        .value_kind:     hidden_global_offset_y
      - .offset:         240
        .size:           8
        .value_kind:     hidden_global_offset_z
      - .offset:         248
        .size:           2
        .value_kind:     hidden_grid_dims
    .group_segment_fixed_size: 0
    .kernarg_segment_align: 8
    .kernarg_segment_size: 440
    .language:       OpenCL C
    .language_version:
      - 2
      - 0
    .max_flat_workgroup_size: 1024
    .name:           _ZN2at6native30max_unpooling3d_forward_kernelIaEEvN5torch10headeronly6detail27GenericPackedTensorAccessorINS4_14TensorAccessorIN3c108ArrayRefIlEEKT_Lm3ENS3_16DefaultPtrTraitsElEENS_6detail16IndexBoundsCheckILm4ElEESB_Lm4ESC_lEENS5_INS6_IS9_KlLm3ESC_lEESG_SI_Lm4ESC_lEEPSA_llll
    .private_segment_fixed_size: 0
    .sgpr_count:     28
    .sgpr_spill_count: 0
    .symbol:         _ZN2at6native30max_unpooling3d_forward_kernelIaEEvN5torch10headeronly6detail27GenericPackedTensorAccessorINS4_14TensorAccessorIN3c108ArrayRefIlEEKT_Lm3ENS3_16DefaultPtrTraitsElEENS_6detail16IndexBoundsCheckILm4ElEESB_Lm4ESC_lEENS5_INS6_IS9_KlLm3ESC_lEESG_SI_Lm4ESC_lEEPSA_llll.kd
    .uniform_work_group_size: 1
    .uses_dynamic_stack: false
    .vgpr_count:     8
    .vgpr_spill_count: 0
    .wavefront_size: 32
  - .args:
      - .offset:         0
        .size:           72
        .value_kind:     by_value
      - .offset:         72
        .size:           72
        .value_kind:     by_value
      - .address_space:  global
        .offset:         144
        .size:           8
        .value_kind:     global_buffer
      - .offset:         152
        .size:           8
        .value_kind:     by_value
      - .offset:         160
        .size:           8
        .value_kind:     by_value
      - .offset:         168
        .size:           8
        .value_kind:     by_value
      - .offset:         176
        .size:           8
        .value_kind:     by_value
      - .offset:         184
        .size:           4
        .value_kind:     hidden_block_count_x
      - .offset:         188
        .size:           4
        .value_kind:     hidden_block_count_y
      - .offset:         192
        .size:           4
        .value_kind:     hidden_block_count_z
      - .offset:         196
        .size:           2
        .value_kind:     hidden_group_size_x
      - .offset:         198
        .size:           2
        .value_kind:     hidden_group_size_y
      - .offset:         200
        .size:           2
        .value_kind:     hidden_group_size_z
      - .offset:         202
        .size:           2
        .value_kind:     hidden_remainder_x
      - .offset:         204
        .size:           2
        .value_kind:     hidden_remainder_y
      - .offset:         206
        .size:           2
        .value_kind:     hidden_remainder_z
      - .offset:         224
        .size:           8
        .value_kind:     hidden_global_offset_x
      - .offset:         232
        .size:           8
        .value_kind:     hidden_global_offset_y
      - .offset:         240
        .size:           8
        .value_kind:     hidden_global_offset_z
      - .offset:         248
        .size:           2
        .value_kind:     hidden_grid_dims
    .group_segment_fixed_size: 0
    .kernarg_segment_align: 8
    .kernarg_segment_size: 440
    .language:       OpenCL C
    .language_version:
      - 2
      - 0
    .max_flat_workgroup_size: 1024
    .name:           _ZN2at6native30max_unpooling3d_forward_kernelIiEEvN5torch10headeronly6detail27GenericPackedTensorAccessorINS4_14TensorAccessorIN3c108ArrayRefIlEEKT_Lm3ENS3_16DefaultPtrTraitsElEENS_6detail16IndexBoundsCheckILm4ElEESB_Lm4ESC_lEENS5_INS6_IS9_KlLm3ESC_lEESG_SI_Lm4ESC_lEEPSA_llll
    .private_segment_fixed_size: 0
    .sgpr_count:     28
    .sgpr_spill_count: 0
    .symbol:         _ZN2at6native30max_unpooling3d_forward_kernelIiEEvN5torch10headeronly6detail27GenericPackedTensorAccessorINS4_14TensorAccessorIN3c108ArrayRefIlEEKT_Lm3ENS3_16DefaultPtrTraitsElEENS_6detail16IndexBoundsCheckILm4ElEESB_Lm4ESC_lEENS5_INS6_IS9_KlLm3ESC_lEESG_SI_Lm4ESC_lEEPSA_llll.kd
    .uniform_work_group_size: 1
    .uses_dynamic_stack: false
    .vgpr_count:     8
    .vgpr_spill_count: 0
    .wavefront_size: 32
  - .args:
      - .offset:         0
        .size:           72
        .value_kind:     by_value
      - .offset:         72
        .size:           72
        .value_kind:     by_value
      - .address_space:  global
        .offset:         144
        .size:           8
        .value_kind:     global_buffer
      - .offset:         152
        .size:           8
        .value_kind:     by_value
      - .offset:         160
        .size:           8
        .value_kind:     by_value
      - .offset:         168
        .size:           8
        .value_kind:     by_value
      - .offset:         176
        .size:           8
        .value_kind:     by_value
      - .offset:         184
        .size:           4
        .value_kind:     hidden_block_count_x
      - .offset:         188
        .size:           4
        .value_kind:     hidden_block_count_y
      - .offset:         192
        .size:           4
        .value_kind:     hidden_block_count_z
      - .offset:         196
        .size:           2
        .value_kind:     hidden_group_size_x
      - .offset:         198
        .size:           2
        .value_kind:     hidden_group_size_y
      - .offset:         200
        .size:           2
        .value_kind:     hidden_group_size_z
      - .offset:         202
        .size:           2
        .value_kind:     hidden_remainder_x
      - .offset:         204
        .size:           2
        .value_kind:     hidden_remainder_y
      - .offset:         206
        .size:           2
        .value_kind:     hidden_remainder_z
      - .offset:         224
        .size:           8
        .value_kind:     hidden_global_offset_x
      - .offset:         232
        .size:           8
        .value_kind:     hidden_global_offset_y
      - .offset:         240
        .size:           8
        .value_kind:     hidden_global_offset_z
      - .offset:         248
        .size:           2
        .value_kind:     hidden_grid_dims
    .group_segment_fixed_size: 0
    .kernarg_segment_align: 8
    .kernarg_segment_size: 440
    .language:       OpenCL C
    .language_version:
      - 2
      - 0
    .max_flat_workgroup_size: 1024
    .name:           _ZN2at6native30max_unpooling3d_forward_kernelIlEEvN5torch10headeronly6detail27GenericPackedTensorAccessorINS4_14TensorAccessorIN3c108ArrayRefIlEEKT_Lm3ENS3_16DefaultPtrTraitsElEENS_6detail16IndexBoundsCheckILm4ElEESB_Lm4ESC_lEENS5_INS6_IS9_KlLm3ESC_lEESG_SI_Lm4ESC_lEEPSA_llll
    .private_segment_fixed_size: 0
    .sgpr_count:     28
    .sgpr_spill_count: 0
    .symbol:         _ZN2at6native30max_unpooling3d_forward_kernelIlEEvN5torch10headeronly6detail27GenericPackedTensorAccessorINS4_14TensorAccessorIN3c108ArrayRefIlEEKT_Lm3ENS3_16DefaultPtrTraitsElEENS_6detail16IndexBoundsCheckILm4ElEESB_Lm4ESC_lEENS5_INS6_IS9_KlLm3ESC_lEESG_SI_Lm4ESC_lEEPSA_llll.kd
    .uniform_work_group_size: 1
    .uses_dynamic_stack: false
    .vgpr_count:     8
    .vgpr_spill_count: 0
    .wavefront_size: 32
  - .args:
      - .offset:         0
        .size:           72
        .value_kind:     by_value
      - .offset:         72
        .size:           72
        .value_kind:     by_value
      - .address_space:  global
        .offset:         144
        .size:           8
        .value_kind:     global_buffer
      - .offset:         152
        .size:           8
        .value_kind:     by_value
      - .offset:         160
        .size:           8
        .value_kind:     by_value
      - .offset:         168
        .size:           8
        .value_kind:     by_value
      - .offset:         176
        .size:           8
        .value_kind:     by_value
      - .offset:         184
        .size:           4
        .value_kind:     hidden_block_count_x
      - .offset:         188
        .size:           4
        .value_kind:     hidden_block_count_y
      - .offset:         192
        .size:           4
        .value_kind:     hidden_block_count_z
      - .offset:         196
        .size:           2
        .value_kind:     hidden_group_size_x
      - .offset:         198
        .size:           2
        .value_kind:     hidden_group_size_y
      - .offset:         200
        .size:           2
        .value_kind:     hidden_group_size_z
      - .offset:         202
        .size:           2
        .value_kind:     hidden_remainder_x
      - .offset:         204
        .size:           2
        .value_kind:     hidden_remainder_y
      - .offset:         206
        .size:           2
        .value_kind:     hidden_remainder_z
      - .offset:         224
        .size:           8
        .value_kind:     hidden_global_offset_x
      - .offset:         232
        .size:           8
        .value_kind:     hidden_global_offset_y
      - .offset:         240
        .size:           8
        .value_kind:     hidden_global_offset_z
      - .offset:         248
        .size:           2
        .value_kind:     hidden_grid_dims
    .group_segment_fixed_size: 0
    .kernarg_segment_align: 8
    .kernarg_segment_size: 440
    .language:       OpenCL C
    .language_version:
      - 2
      - 0
    .max_flat_workgroup_size: 1024
    .name:           _ZN2at6native30max_unpooling3d_forward_kernelIsEEvN5torch10headeronly6detail27GenericPackedTensorAccessorINS4_14TensorAccessorIN3c108ArrayRefIlEEKT_Lm3ENS3_16DefaultPtrTraitsElEENS_6detail16IndexBoundsCheckILm4ElEESB_Lm4ESC_lEENS5_INS6_IS9_KlLm3ESC_lEESG_SI_Lm4ESC_lEEPSA_llll
    .private_segment_fixed_size: 0
    .sgpr_count:     28
    .sgpr_spill_count: 0
    .symbol:         _ZN2at6native30max_unpooling3d_forward_kernelIsEEvN5torch10headeronly6detail27GenericPackedTensorAccessorINS4_14TensorAccessorIN3c108ArrayRefIlEEKT_Lm3ENS3_16DefaultPtrTraitsElEENS_6detail16IndexBoundsCheckILm4ElEESB_Lm4ESC_lEENS5_INS6_IS9_KlLm3ESC_lEESG_SI_Lm4ESC_lEEPSA_llll.kd
    .uniform_work_group_size: 1
    .uses_dynamic_stack: false
    .vgpr_count:     8
    .vgpr_spill_count: 0
    .wavefront_size: 32
  - .args:
      - .offset:         0
        .size:           72
        .value_kind:     by_value
      - .offset:         72
        .size:           72
        .value_kind:     by_value
      - .address_space:  global
        .offset:         144
        .size:           8
        .value_kind:     global_buffer
      - .offset:         152
        .size:           8
        .value_kind:     by_value
      - .offset:         160
        .size:           8
        .value_kind:     by_value
      - .offset:         168
        .size:           8
        .value_kind:     by_value
      - .offset:         176
        .size:           8
        .value_kind:     by_value
      - .offset:         184
        .size:           4
        .value_kind:     hidden_block_count_x
      - .offset:         188
        .size:           4
        .value_kind:     hidden_block_count_y
      - .offset:         192
        .size:           4
        .value_kind:     hidden_block_count_z
      - .offset:         196
        .size:           2
        .value_kind:     hidden_group_size_x
      - .offset:         198
        .size:           2
        .value_kind:     hidden_group_size_y
      - .offset:         200
        .size:           2
        .value_kind:     hidden_group_size_z
      - .offset:         202
        .size:           2
        .value_kind:     hidden_remainder_x
      - .offset:         204
        .size:           2
        .value_kind:     hidden_remainder_y
      - .offset:         206
        .size:           2
        .value_kind:     hidden_remainder_z
      - .offset:         224
        .size:           8
        .value_kind:     hidden_global_offset_x
      - .offset:         232
        .size:           8
        .value_kind:     hidden_global_offset_y
      - .offset:         240
        .size:           8
        .value_kind:     hidden_global_offset_z
      - .offset:         248
        .size:           2
        .value_kind:     hidden_grid_dims
    .group_segment_fixed_size: 0
    .kernarg_segment_align: 8
    .kernarg_segment_size: 440
    .language:       OpenCL C
    .language_version:
      - 2
      - 0
    .max_flat_workgroup_size: 1024
    .name:           _ZN2at6native30max_unpooling3d_forward_kernelIdEEvN5torch10headeronly6detail27GenericPackedTensorAccessorINS4_14TensorAccessorIN3c108ArrayRefIlEEKT_Lm3ENS3_16DefaultPtrTraitsElEENS_6detail16IndexBoundsCheckILm4ElEESB_Lm4ESC_lEENS5_INS6_IS9_KlLm3ESC_lEESG_SI_Lm4ESC_lEEPSA_llll
    .private_segment_fixed_size: 0
    .sgpr_count:     28
    .sgpr_spill_count: 0
    .symbol:         _ZN2at6native30max_unpooling3d_forward_kernelIdEEvN5torch10headeronly6detail27GenericPackedTensorAccessorINS4_14TensorAccessorIN3c108ArrayRefIlEEKT_Lm3ENS3_16DefaultPtrTraitsElEENS_6detail16IndexBoundsCheckILm4ElEESB_Lm4ESC_lEENS5_INS6_IS9_KlLm3ESC_lEESG_SI_Lm4ESC_lEEPSA_llll.kd
    .uniform_work_group_size: 1
    .uses_dynamic_stack: false
    .vgpr_count:     8
    .vgpr_spill_count: 0
    .wavefront_size: 32
  - .args:
      - .offset:         0
        .size:           72
        .value_kind:     by_value
      - .offset:         72
        .size:           72
        .value_kind:     by_value
      - .address_space:  global
        .offset:         144
        .size:           8
        .value_kind:     global_buffer
      - .offset:         152
        .size:           8
        .value_kind:     by_value
      - .offset:         160
        .size:           8
        .value_kind:     by_value
      - .offset:         168
        .size:           8
        .value_kind:     by_value
      - .offset:         176
        .size:           8
        .value_kind:     by_value
      - .offset:         184
        .size:           4
        .value_kind:     hidden_block_count_x
      - .offset:         188
        .size:           4
        .value_kind:     hidden_block_count_y
      - .offset:         192
        .size:           4
        .value_kind:     hidden_block_count_z
      - .offset:         196
        .size:           2
        .value_kind:     hidden_group_size_x
      - .offset:         198
        .size:           2
        .value_kind:     hidden_group_size_y
      - .offset:         200
        .size:           2
        .value_kind:     hidden_group_size_z
      - .offset:         202
        .size:           2
        .value_kind:     hidden_remainder_x
      - .offset:         204
        .size:           2
        .value_kind:     hidden_remainder_y
      - .offset:         206
        .size:           2
        .value_kind:     hidden_remainder_z
      - .offset:         224
        .size:           8
        .value_kind:     hidden_global_offset_x
      - .offset:         232
        .size:           8
        .value_kind:     hidden_global_offset_y
      - .offset:         240
        .size:           8
        .value_kind:     hidden_global_offset_z
      - .offset:         248
        .size:           2
        .value_kind:     hidden_grid_dims
    .group_segment_fixed_size: 0
    .kernarg_segment_align: 8
    .kernarg_segment_size: 440
    .language:       OpenCL C
    .language_version:
      - 2
      - 0
    .max_flat_workgroup_size: 1024
    .name:           _ZN2at6native30max_unpooling3d_forward_kernelIfEEvN5torch10headeronly6detail27GenericPackedTensorAccessorINS4_14TensorAccessorIN3c108ArrayRefIlEEKT_Lm3ENS3_16DefaultPtrTraitsElEENS_6detail16IndexBoundsCheckILm4ElEESB_Lm4ESC_lEENS5_INS6_IS9_KlLm3ESC_lEESG_SI_Lm4ESC_lEEPSA_llll
    .private_segment_fixed_size: 0
    .sgpr_count:     28
    .sgpr_spill_count: 0
    .symbol:         _ZN2at6native30max_unpooling3d_forward_kernelIfEEvN5torch10headeronly6detail27GenericPackedTensorAccessorINS4_14TensorAccessorIN3c108ArrayRefIlEEKT_Lm3ENS3_16DefaultPtrTraitsElEENS_6detail16IndexBoundsCheckILm4ElEESB_Lm4ESC_lEENS5_INS6_IS9_KlLm3ESC_lEESG_SI_Lm4ESC_lEEPSA_llll.kd
    .uniform_work_group_size: 1
    .uses_dynamic_stack: false
    .vgpr_count:     8
    .vgpr_spill_count: 0
    .wavefront_size: 32
  - .args:
      - .offset:         0
        .size:           72
        .value_kind:     by_value
      - .offset:         72
        .size:           72
        .value_kind:     by_value
      - .address_space:  global
        .offset:         144
        .size:           8
        .value_kind:     global_buffer
      - .offset:         152
        .size:           8
        .value_kind:     by_value
      - .offset:         160
        .size:           8
        .value_kind:     by_value
      - .offset:         168
        .size:           8
        .value_kind:     by_value
      - .offset:         176
        .size:           8
        .value_kind:     by_value
      - .offset:         184
        .size:           4
        .value_kind:     hidden_block_count_x
      - .offset:         188
        .size:           4
        .value_kind:     hidden_block_count_y
      - .offset:         192
        .size:           4
        .value_kind:     hidden_block_count_z
      - .offset:         196
        .size:           2
        .value_kind:     hidden_group_size_x
      - .offset:         198
        .size:           2
        .value_kind:     hidden_group_size_y
      - .offset:         200
        .size:           2
        .value_kind:     hidden_group_size_z
      - .offset:         202
        .size:           2
        .value_kind:     hidden_remainder_x
      - .offset:         204
        .size:           2
        .value_kind:     hidden_remainder_y
      - .offset:         206
        .size:           2
        .value_kind:     hidden_remainder_z
      - .offset:         224
        .size:           8
        .value_kind:     hidden_global_offset_x
      - .offset:         232
        .size:           8
        .value_kind:     hidden_global_offset_y
      - .offset:         240
        .size:           8
        .value_kind:     hidden_global_offset_z
      - .offset:         248
        .size:           2
        .value_kind:     hidden_grid_dims
    .group_segment_fixed_size: 0
    .kernarg_segment_align: 8
    .kernarg_segment_size: 440
    .language:       OpenCL C
    .language_version:
      - 2
      - 0
    .max_flat_workgroup_size: 1024
    .name:           _ZN2at6native30max_unpooling3d_forward_kernelIN3c104HalfEEEvN5torch10headeronly6detail27GenericPackedTensorAccessorINS6_14TensorAccessorINS2_8ArrayRefIlEEKT_Lm3ENS5_16DefaultPtrTraitsElEENS_6detail16IndexBoundsCheckILm4ElEESC_Lm4ESD_lEENS7_INS8_ISA_KlLm3ESD_lEESH_SJ_Lm4ESD_lEEPSB_llll
    .private_segment_fixed_size: 0
    .sgpr_count:     28
    .sgpr_spill_count: 0
    .symbol:         _ZN2at6native30max_unpooling3d_forward_kernelIN3c104HalfEEEvN5torch10headeronly6detail27GenericPackedTensorAccessorINS6_14TensorAccessorINS2_8ArrayRefIlEEKT_Lm3ENS5_16DefaultPtrTraitsElEENS_6detail16IndexBoundsCheckILm4ElEESC_Lm4ESD_lEENS7_INS8_ISA_KlLm3ESD_lEESH_SJ_Lm4ESD_lEEPSB_llll.kd
    .uniform_work_group_size: 1
    .uses_dynamic_stack: false
    .vgpr_count:     8
    .vgpr_spill_count: 0
    .wavefront_size: 32
  - .args:
      - .offset:         0
        .size:           72
        .value_kind:     by_value
      - .offset:         72
        .size:           72
        .value_kind:     by_value
      - .address_space:  global
        .offset:         144
        .size:           8
        .value_kind:     global_buffer
      - .offset:         152
        .size:           8
        .value_kind:     by_value
      - .offset:         160
        .size:           8
        .value_kind:     by_value
      - .offset:         168
        .size:           8
        .value_kind:     by_value
      - .offset:         176
        .size:           8
        .value_kind:     by_value
      - .offset:         184
        .size:           4
        .value_kind:     hidden_block_count_x
      - .offset:         188
        .size:           4
        .value_kind:     hidden_block_count_y
      - .offset:         192
        .size:           4
        .value_kind:     hidden_block_count_z
      - .offset:         196
        .size:           2
        .value_kind:     hidden_group_size_x
      - .offset:         198
        .size:           2
        .value_kind:     hidden_group_size_y
      - .offset:         200
        .size:           2
        .value_kind:     hidden_group_size_z
      - .offset:         202
        .size:           2
        .value_kind:     hidden_remainder_x
      - .offset:         204
        .size:           2
        .value_kind:     hidden_remainder_y
      - .offset:         206
        .size:           2
        .value_kind:     hidden_remainder_z
      - .offset:         224
        .size:           8
        .value_kind:     hidden_global_offset_x
      - .offset:         232
        .size:           8
        .value_kind:     hidden_global_offset_y
      - .offset:         240
        .size:           8
        .value_kind:     hidden_global_offset_z
      - .offset:         248
        .size:           2
        .value_kind:     hidden_grid_dims
    .group_segment_fixed_size: 0
    .kernarg_segment_align: 8
    .kernarg_segment_size: 440
    .language:       OpenCL C
    .language_version:
      - 2
      - 0
    .max_flat_workgroup_size: 1024
    .name:           _ZN2at6native30max_unpooling3d_forward_kernelIN3c108BFloat16EEEvN5torch10headeronly6detail27GenericPackedTensorAccessorINS6_14TensorAccessorINS2_8ArrayRefIlEEKT_Lm3ENS5_16DefaultPtrTraitsElEENS_6detail16IndexBoundsCheckILm4ElEESC_Lm4ESD_lEENS7_INS8_ISA_KlLm3ESD_lEESH_SJ_Lm4ESD_lEEPSB_llll
    .private_segment_fixed_size: 0
    .sgpr_count:     28
    .sgpr_spill_count: 0
    .symbol:         _ZN2at6native30max_unpooling3d_forward_kernelIN3c108BFloat16EEEvN5torch10headeronly6detail27GenericPackedTensorAccessorINS6_14TensorAccessorINS2_8ArrayRefIlEEKT_Lm3ENS5_16DefaultPtrTraitsElEENS_6detail16IndexBoundsCheckILm4ElEESC_Lm4ESD_lEENS7_INS8_ISA_KlLm3ESD_lEESH_SJ_Lm4ESD_lEEPSB_llll.kd
    .uniform_work_group_size: 1
    .uses_dynamic_stack: false
    .vgpr_count:     8
    .vgpr_spill_count: 0
    .wavefront_size: 32
  - .args:
      - .offset:         0
        .size:           8
        .value_kind:     by_value
      - .address_space:  global
        .offset:         8
        .size:           8
        .value_kind:     global_buffer
      - .address_space:  global
        .offset:         16
        .size:           8
        .value_kind:     global_buffer
      - .offset:         24
        .size:           8
        .value_kind:     by_value
      - .offset:         32
        .size:           8
        .value_kind:     by_value
      - .offset:         40
        .size:           8
        .value_kind:     by_value
      - .offset:         48
        .size:           8
        .value_kind:     by_value
      - .offset:         56
        .size:           8
        .value_kind:     by_value
      - .address_space:  global
        .offset:         64
        .size:           8
        .value_kind:     global_buffer
      - .offset:         72
        .size:           4
        .value_kind:     hidden_block_count_x
      - .offset:         76
        .size:           4
        .value_kind:     hidden_block_count_y
      - .offset:         80
        .size:           4
        .value_kind:     hidden_block_count_z
      - .offset:         84
        .size:           2
        .value_kind:     hidden_group_size_x
      - .offset:         86
        .size:           2
        .value_kind:     hidden_group_size_y
      - .offset:         88
        .size:           2
        .value_kind:     hidden_group_size_z
      - .offset:         90
        .size:           2
        .value_kind:     hidden_remainder_x
      - .offset:         92
        .size:           2
        .value_kind:     hidden_remainder_y
      - .offset:         94
        .size:           2
        .value_kind:     hidden_remainder_z
      - .offset:         112
        .size:           8
        .value_kind:     hidden_global_offset_x
      - .offset:         120
        .size:           8
        .value_kind:     hidden_global_offset_y
      - .offset:         128
        .size:           8
        .value_kind:     hidden_global_offset_z
      - .offset:         136
        .size:           2
        .value_kind:     hidden_grid_dims
    .group_segment_fixed_size: 0
    .kernarg_segment_align: 8
    .kernarg_segment_size: 328
    .language:       OpenCL C
    .language_version:
      - 2
      - 0
    .max_flat_workgroup_size: 1024
    .name:           _ZN2at6native31max_unpooling2d_backward_kernelIhEEvlPKT_PKllllllPS2_
    .private_segment_fixed_size: 0
    .sgpr_count:     44
    .sgpr_spill_count: 0
    .symbol:         _ZN2at6native31max_unpooling2d_backward_kernelIhEEvlPKT_PKllllllPS2_.kd
    .uniform_work_group_size: 1
    .uses_dynamic_stack: false
    .vgpr_count:     28
    .vgpr_spill_count: 0
    .wavefront_size: 32
  - .args:
      - .offset:         0
        .size:           8
        .value_kind:     by_value
      - .address_space:  global
        .offset:         8
        .size:           8
        .value_kind:     global_buffer
      - .address_space:  global
        .offset:         16
        .size:           8
        .value_kind:     global_buffer
      - .offset:         24
        .size:           8
        .value_kind:     by_value
      - .offset:         32
        .size:           8
        .value_kind:     by_value
      - .offset:         40
        .size:           8
        .value_kind:     by_value
      - .offset:         48
        .size:           8
        .value_kind:     by_value
      - .offset:         56
        .size:           8
        .value_kind:     by_value
      - .address_space:  global
        .offset:         64
        .size:           8
        .value_kind:     global_buffer
      - .offset:         72
        .size:           4
        .value_kind:     hidden_block_count_x
      - .offset:         76
        .size:           4
        .value_kind:     hidden_block_count_y
      - .offset:         80
        .size:           4
        .value_kind:     hidden_block_count_z
      - .offset:         84
        .size:           2
        .value_kind:     hidden_group_size_x
      - .offset:         86
        .size:           2
        .value_kind:     hidden_group_size_y
      - .offset:         88
        .size:           2
        .value_kind:     hidden_group_size_z
      - .offset:         90
        .size:           2
        .value_kind:     hidden_remainder_x
      - .offset:         92
        .size:           2
        .value_kind:     hidden_remainder_y
      - .offset:         94
        .size:           2
        .value_kind:     hidden_remainder_z
      - .offset:         112
        .size:           8
        .value_kind:     hidden_global_offset_x
      - .offset:         120
        .size:           8
        .value_kind:     hidden_global_offset_y
      - .offset:         128
        .size:           8
        .value_kind:     hidden_global_offset_z
      - .offset:         136
        .size:           2
        .value_kind:     hidden_grid_dims
    .group_segment_fixed_size: 0
    .kernarg_segment_align: 8
    .kernarg_segment_size: 328
    .language:       OpenCL C
    .language_version:
      - 2
      - 0
    .max_flat_workgroup_size: 1024
    .name:           _ZN2at6native31max_unpooling2d_backward_kernelIaEEvlPKT_PKllllllPS2_
    .private_segment_fixed_size: 0
    .sgpr_count:     44
    .sgpr_spill_count: 0
    .symbol:         _ZN2at6native31max_unpooling2d_backward_kernelIaEEvlPKT_PKllllllPS2_.kd
    .uniform_work_group_size: 1
    .uses_dynamic_stack: false
    .vgpr_count:     28
    .vgpr_spill_count: 0
    .wavefront_size: 32
  - .args:
      - .offset:         0
        .size:           8
        .value_kind:     by_value
      - .address_space:  global
        .offset:         8
        .size:           8
        .value_kind:     global_buffer
      - .address_space:  global
        .offset:         16
        .size:           8
        .value_kind:     global_buffer
      - .offset:         24
        .size:           8
        .value_kind:     by_value
      - .offset:         32
        .size:           8
        .value_kind:     by_value
      - .offset:         40
        .size:           8
        .value_kind:     by_value
      - .offset:         48
        .size:           8
        .value_kind:     by_value
      - .offset:         56
        .size:           8
        .value_kind:     by_value
      - .address_space:  global
        .offset:         64
        .size:           8
        .value_kind:     global_buffer
      - .offset:         72
        .size:           4
        .value_kind:     hidden_block_count_x
      - .offset:         76
        .size:           4
        .value_kind:     hidden_block_count_y
      - .offset:         80
        .size:           4
        .value_kind:     hidden_block_count_z
      - .offset:         84
        .size:           2
        .value_kind:     hidden_group_size_x
      - .offset:         86
        .size:           2
        .value_kind:     hidden_group_size_y
      - .offset:         88
        .size:           2
        .value_kind:     hidden_group_size_z
      - .offset:         90
        .size:           2
        .value_kind:     hidden_remainder_x
      - .offset:         92
        .size:           2
        .value_kind:     hidden_remainder_y
      - .offset:         94
        .size:           2
        .value_kind:     hidden_remainder_z
      - .offset:         112
        .size:           8
        .value_kind:     hidden_global_offset_x
      - .offset:         120
        .size:           8
        .value_kind:     hidden_global_offset_y
      - .offset:         128
        .size:           8
        .value_kind:     hidden_global_offset_z
      - .offset:         136
        .size:           2
        .value_kind:     hidden_grid_dims
    .group_segment_fixed_size: 0
    .kernarg_segment_align: 8
    .kernarg_segment_size: 328
    .language:       OpenCL C
    .language_version:
      - 2
      - 0
    .max_flat_workgroup_size: 1024
    .name:           _ZN2at6native31max_unpooling2d_backward_kernelIiEEvlPKT_PKllllllPS2_
    .private_segment_fixed_size: 0
    .sgpr_count:     44
    .sgpr_spill_count: 0
    .symbol:         _ZN2at6native31max_unpooling2d_backward_kernelIiEEvlPKT_PKllllllPS2_.kd
    .uniform_work_group_size: 1
    .uses_dynamic_stack: false
    .vgpr_count:     28
    .vgpr_spill_count: 0
    .wavefront_size: 32
  - .args:
      - .offset:         0
        .size:           8
        .value_kind:     by_value
      - .address_space:  global
        .offset:         8
        .size:           8
        .value_kind:     global_buffer
      - .address_space:  global
        .offset:         16
        .size:           8
        .value_kind:     global_buffer
      - .offset:         24
        .size:           8
        .value_kind:     by_value
      - .offset:         32
        .size:           8
        .value_kind:     by_value
      - .offset:         40
        .size:           8
        .value_kind:     by_value
      - .offset:         48
        .size:           8
        .value_kind:     by_value
      - .offset:         56
        .size:           8
        .value_kind:     by_value
      - .address_space:  global
        .offset:         64
        .size:           8
        .value_kind:     global_buffer
      - .offset:         72
        .size:           4
        .value_kind:     hidden_block_count_x
      - .offset:         76
        .size:           4
        .value_kind:     hidden_block_count_y
      - .offset:         80
        .size:           4
        .value_kind:     hidden_block_count_z
      - .offset:         84
        .size:           2
        .value_kind:     hidden_group_size_x
      - .offset:         86
        .size:           2
        .value_kind:     hidden_group_size_y
      - .offset:         88
        .size:           2
        .value_kind:     hidden_group_size_z
      - .offset:         90
        .size:           2
        .value_kind:     hidden_remainder_x
      - .offset:         92
        .size:           2
        .value_kind:     hidden_remainder_y
      - .offset:         94
        .size:           2
        .value_kind:     hidden_remainder_z
      - .offset:         112
        .size:           8
        .value_kind:     hidden_global_offset_x
      - .offset:         120
        .size:           8
        .value_kind:     hidden_global_offset_y
      - .offset:         128
        .size:           8
        .value_kind:     hidden_global_offset_z
      - .offset:         136
        .size:           2
        .value_kind:     hidden_grid_dims
    .group_segment_fixed_size: 0
    .kernarg_segment_align: 8
    .kernarg_segment_size: 328
    .language:       OpenCL C
    .language_version:
      - 2
      - 0
    .max_flat_workgroup_size: 1024
    .name:           _ZN2at6native31max_unpooling2d_backward_kernelIlEEvlPKT_PKllllllPS2_
    .private_segment_fixed_size: 0
    .sgpr_count:     44
    .sgpr_spill_count: 0
    .symbol:         _ZN2at6native31max_unpooling2d_backward_kernelIlEEvlPKT_PKllllllPS2_.kd
    .uniform_work_group_size: 1
    .uses_dynamic_stack: false
    .vgpr_count:     28
    .vgpr_spill_count: 0
    .wavefront_size: 32
  - .args:
      - .offset:         0
        .size:           8
        .value_kind:     by_value
      - .address_space:  global
        .offset:         8
        .size:           8
        .value_kind:     global_buffer
      - .address_space:  global
        .offset:         16
        .size:           8
        .value_kind:     global_buffer
      - .offset:         24
        .size:           8
        .value_kind:     by_value
      - .offset:         32
        .size:           8
        .value_kind:     by_value
      - .offset:         40
        .size:           8
        .value_kind:     by_value
      - .offset:         48
        .size:           8
        .value_kind:     by_value
      - .offset:         56
        .size:           8
        .value_kind:     by_value
      - .address_space:  global
        .offset:         64
        .size:           8
        .value_kind:     global_buffer
      - .offset:         72
        .size:           4
        .value_kind:     hidden_block_count_x
      - .offset:         76
        .size:           4
        .value_kind:     hidden_block_count_y
      - .offset:         80
        .size:           4
        .value_kind:     hidden_block_count_z
      - .offset:         84
        .size:           2
        .value_kind:     hidden_group_size_x
      - .offset:         86
        .size:           2
        .value_kind:     hidden_group_size_y
      - .offset:         88
        .size:           2
        .value_kind:     hidden_group_size_z
      - .offset:         90
        .size:           2
        .value_kind:     hidden_remainder_x
      - .offset:         92
        .size:           2
        .value_kind:     hidden_remainder_y
      - .offset:         94
        .size:           2
        .value_kind:     hidden_remainder_z
      - .offset:         112
        .size:           8
        .value_kind:     hidden_global_offset_x
      - .offset:         120
        .size:           8
        .value_kind:     hidden_global_offset_y
      - .offset:         128
        .size:           8
        .value_kind:     hidden_global_offset_z
      - .offset:         136
        .size:           2
        .value_kind:     hidden_grid_dims
    .group_segment_fixed_size: 0
    .kernarg_segment_align: 8
    .kernarg_segment_size: 328
    .language:       OpenCL C
    .language_version:
      - 2
      - 0
    .max_flat_workgroup_size: 1024
    .name:           _ZN2at6native31max_unpooling2d_backward_kernelIsEEvlPKT_PKllllllPS2_
    .private_segment_fixed_size: 0
    .sgpr_count:     44
    .sgpr_spill_count: 0
    .symbol:         _ZN2at6native31max_unpooling2d_backward_kernelIsEEvlPKT_PKllllllPS2_.kd
    .uniform_work_group_size: 1
    .uses_dynamic_stack: false
    .vgpr_count:     28
    .vgpr_spill_count: 0
    .wavefront_size: 32
  - .args:
      - .offset:         0
        .size:           8
        .value_kind:     by_value
      - .address_space:  global
        .offset:         8
        .size:           8
        .value_kind:     global_buffer
      - .address_space:  global
        .offset:         16
        .size:           8
        .value_kind:     global_buffer
      - .offset:         24
        .size:           8
        .value_kind:     by_value
      - .offset:         32
        .size:           8
        .value_kind:     by_value
      - .offset:         40
        .size:           8
        .value_kind:     by_value
      - .offset:         48
        .size:           8
        .value_kind:     by_value
      - .offset:         56
        .size:           8
        .value_kind:     by_value
      - .address_space:  global
        .offset:         64
        .size:           8
        .value_kind:     global_buffer
      - .offset:         72
        .size:           4
        .value_kind:     hidden_block_count_x
      - .offset:         76
        .size:           4
        .value_kind:     hidden_block_count_y
      - .offset:         80
        .size:           4
        .value_kind:     hidden_block_count_z
      - .offset:         84
        .size:           2
        .value_kind:     hidden_group_size_x
      - .offset:         86
        .size:           2
        .value_kind:     hidden_group_size_y
      - .offset:         88
        .size:           2
        .value_kind:     hidden_group_size_z
      - .offset:         90
        .size:           2
        .value_kind:     hidden_remainder_x
      - .offset:         92
        .size:           2
        .value_kind:     hidden_remainder_y
      - .offset:         94
        .size:           2
        .value_kind:     hidden_remainder_z
      - .offset:         112
        .size:           8
        .value_kind:     hidden_global_offset_x
      - .offset:         120
        .size:           8
        .value_kind:     hidden_global_offset_y
      - .offset:         128
        .size:           8
        .value_kind:     hidden_global_offset_z
      - .offset:         136
        .size:           2
        .value_kind:     hidden_grid_dims
    .group_segment_fixed_size: 0
    .kernarg_segment_align: 8
    .kernarg_segment_size: 328
    .language:       OpenCL C
    .language_version:
      - 2
      - 0
    .max_flat_workgroup_size: 1024
    .name:           _ZN2at6native31max_unpooling2d_backward_kernelIdEEvlPKT_PKllllllPS2_
    .private_segment_fixed_size: 0
    .sgpr_count:     44
    .sgpr_spill_count: 0
    .symbol:         _ZN2at6native31max_unpooling2d_backward_kernelIdEEvlPKT_PKllllllPS2_.kd
    .uniform_work_group_size: 1
    .uses_dynamic_stack: false
    .vgpr_count:     28
    .vgpr_spill_count: 0
    .wavefront_size: 32
  - .args:
      - .offset:         0
        .size:           8
        .value_kind:     by_value
      - .address_space:  global
        .offset:         8
        .size:           8
        .value_kind:     global_buffer
      - .address_space:  global
        .offset:         16
        .size:           8
        .value_kind:     global_buffer
      - .offset:         24
        .size:           8
        .value_kind:     by_value
      - .offset:         32
        .size:           8
        .value_kind:     by_value
      - .offset:         40
        .size:           8
        .value_kind:     by_value
      - .offset:         48
        .size:           8
        .value_kind:     by_value
      - .offset:         56
        .size:           8
        .value_kind:     by_value
      - .address_space:  global
        .offset:         64
        .size:           8
        .value_kind:     global_buffer
      - .offset:         72
        .size:           4
        .value_kind:     hidden_block_count_x
      - .offset:         76
        .size:           4
        .value_kind:     hidden_block_count_y
      - .offset:         80
        .size:           4
        .value_kind:     hidden_block_count_z
      - .offset:         84
        .size:           2
        .value_kind:     hidden_group_size_x
      - .offset:         86
        .size:           2
        .value_kind:     hidden_group_size_y
      - .offset:         88
        .size:           2
        .value_kind:     hidden_group_size_z
      - .offset:         90
        .size:           2
        .value_kind:     hidden_remainder_x
      - .offset:         92
        .size:           2
        .value_kind:     hidden_remainder_y
      - .offset:         94
        .size:           2
        .value_kind:     hidden_remainder_z
      - .offset:         112
        .size:           8
        .value_kind:     hidden_global_offset_x
      - .offset:         120
        .size:           8
        .value_kind:     hidden_global_offset_y
      - .offset:         128
        .size:           8
        .value_kind:     hidden_global_offset_z
      - .offset:         136
        .size:           2
        .value_kind:     hidden_grid_dims
    .group_segment_fixed_size: 0
    .kernarg_segment_align: 8
    .kernarg_segment_size: 328
    .language:       OpenCL C
    .language_version:
      - 2
      - 0
    .max_flat_workgroup_size: 1024
    .name:           _ZN2at6native31max_unpooling2d_backward_kernelIfEEvlPKT_PKllllllPS2_
    .private_segment_fixed_size: 0
    .sgpr_count:     44
    .sgpr_spill_count: 0
    .symbol:         _ZN2at6native31max_unpooling2d_backward_kernelIfEEvlPKT_PKllllllPS2_.kd
    .uniform_work_group_size: 1
    .uses_dynamic_stack: false
    .vgpr_count:     28
    .vgpr_spill_count: 0
    .wavefront_size: 32
  - .args:
      - .offset:         0
        .size:           8
        .value_kind:     by_value
      - .address_space:  global
        .offset:         8
        .size:           8
        .value_kind:     global_buffer
      - .address_space:  global
        .offset:         16
        .size:           8
        .value_kind:     global_buffer
      - .offset:         24
        .size:           8
        .value_kind:     by_value
      - .offset:         32
        .size:           8
        .value_kind:     by_value
      - .offset:         40
        .size:           8
        .value_kind:     by_value
      - .offset:         48
        .size:           8
        .value_kind:     by_value
      - .offset:         56
        .size:           8
        .value_kind:     by_value
      - .address_space:  global
        .offset:         64
        .size:           8
        .value_kind:     global_buffer
      - .offset:         72
        .size:           4
        .value_kind:     hidden_block_count_x
      - .offset:         76
        .size:           4
        .value_kind:     hidden_block_count_y
      - .offset:         80
        .size:           4
        .value_kind:     hidden_block_count_z
      - .offset:         84
        .size:           2
        .value_kind:     hidden_group_size_x
      - .offset:         86
        .size:           2
        .value_kind:     hidden_group_size_y
      - .offset:         88
        .size:           2
        .value_kind:     hidden_group_size_z
      - .offset:         90
        .size:           2
        .value_kind:     hidden_remainder_x
      - .offset:         92
        .size:           2
        .value_kind:     hidden_remainder_y
      - .offset:         94
        .size:           2
        .value_kind:     hidden_remainder_z
      - .offset:         112
        .size:           8
        .value_kind:     hidden_global_offset_x
      - .offset:         120
        .size:           8
        .value_kind:     hidden_global_offset_y
      - .offset:         128
        .size:           8
        .value_kind:     hidden_global_offset_z
      - .offset:         136
        .size:           2
        .value_kind:     hidden_grid_dims
    .group_segment_fixed_size: 0
    .kernarg_segment_align: 8
    .kernarg_segment_size: 328
    .language:       OpenCL C
    .language_version:
      - 2
      - 0
    .max_flat_workgroup_size: 1024
    .name:           _ZN2at6native31max_unpooling2d_backward_kernelIN3c104HalfEEEvlPKT_PKllllllPS4_
    .private_segment_fixed_size: 0
    .sgpr_count:     44
    .sgpr_spill_count: 0
    .symbol:         _ZN2at6native31max_unpooling2d_backward_kernelIN3c104HalfEEEvlPKT_PKllllllPS4_.kd
    .uniform_work_group_size: 1
    .uses_dynamic_stack: false
    .vgpr_count:     28
    .vgpr_spill_count: 0
    .wavefront_size: 32
  - .args:
      - .offset:         0
        .size:           8
        .value_kind:     by_value
      - .address_space:  global
        .offset:         8
        .size:           8
        .value_kind:     global_buffer
      - .address_space:  global
        .offset:         16
        .size:           8
        .value_kind:     global_buffer
      - .offset:         24
        .size:           8
        .value_kind:     by_value
      - .offset:         32
        .size:           8
        .value_kind:     by_value
      - .offset:         40
        .size:           8
        .value_kind:     by_value
      - .offset:         48
        .size:           8
        .value_kind:     by_value
      - .offset:         56
        .size:           8
        .value_kind:     by_value
      - .address_space:  global
        .offset:         64
        .size:           8
        .value_kind:     global_buffer
      - .offset:         72
        .size:           4
        .value_kind:     hidden_block_count_x
      - .offset:         76
        .size:           4
        .value_kind:     hidden_block_count_y
      - .offset:         80
        .size:           4
        .value_kind:     hidden_block_count_z
      - .offset:         84
        .size:           2
        .value_kind:     hidden_group_size_x
      - .offset:         86
        .size:           2
        .value_kind:     hidden_group_size_y
      - .offset:         88
        .size:           2
        .value_kind:     hidden_group_size_z
      - .offset:         90
        .size:           2
        .value_kind:     hidden_remainder_x
      - .offset:         92
        .size:           2
        .value_kind:     hidden_remainder_y
      - .offset:         94
        .size:           2
        .value_kind:     hidden_remainder_z
      - .offset:         112
        .size:           8
        .value_kind:     hidden_global_offset_x
      - .offset:         120
        .size:           8
        .value_kind:     hidden_global_offset_y
      - .offset:         128
        .size:           8
        .value_kind:     hidden_global_offset_z
      - .offset:         136
        .size:           2
        .value_kind:     hidden_grid_dims
    .group_segment_fixed_size: 0
    .kernarg_segment_align: 8
    .kernarg_segment_size: 328
    .language:       OpenCL C
    .language_version:
      - 2
      - 0
    .max_flat_workgroup_size: 1024
    .name:           _ZN2at6native31max_unpooling2d_backward_kernelIN3c108BFloat16EEEvlPKT_PKllllllPS4_
    .private_segment_fixed_size: 0
    .sgpr_count:     44
    .sgpr_spill_count: 0
    .symbol:         _ZN2at6native31max_unpooling2d_backward_kernelIN3c108BFloat16EEEvlPKT_PKllllllPS4_.kd
    .uniform_work_group_size: 1
    .uses_dynamic_stack: false
    .vgpr_count:     28
    .vgpr_spill_count: 0
    .wavefront_size: 32
  - .args:
      - .address_space:  global
        .offset:         0
        .size:           8
        .value_kind:     global_buffer
      - .offset:         8
        .size:           8
        .value_kind:     by_value
      - .offset:         16
        .size:           8
        .value_kind:     by_value
      - .offset:         24
        .size:           8
        .value_kind:     by_value
      - .offset:         32
        .size:           72
        .value_kind:     by_value
      - .offset:         104
        .size:           72
        .value_kind:     by_value
      - .offset:         176
        .size:           4
        .value_kind:     by_value
      - .offset:         184
        .size:           4
        .value_kind:     hidden_block_count_x
      - .offset:         188
        .size:           4
        .value_kind:     hidden_block_count_y
      - .offset:         192
        .size:           4
        .value_kind:     hidden_block_count_z
      - .offset:         196
        .size:           2
        .value_kind:     hidden_group_size_x
      - .offset:         198
        .size:           2
        .value_kind:     hidden_group_size_y
      - .offset:         200
        .size:           2
        .value_kind:     hidden_group_size_z
      - .offset:         202
        .size:           2
        .value_kind:     hidden_remainder_x
      - .offset:         204
        .size:           2
        .value_kind:     hidden_remainder_y
      - .offset:         206
        .size:           2
        .value_kind:     hidden_remainder_z
      - .offset:         224
        .size:           8
        .value_kind:     hidden_global_offset_x
      - .offset:         232
        .size:           8
        .value_kind:     hidden_global_offset_y
      - .offset:         240
        .size:           8
        .value_kind:     hidden_global_offset_z
      - .offset:         248
        .size:           2
        .value_kind:     hidden_grid_dims
    .group_segment_fixed_size: 0
    .kernarg_segment_align: 8
    .kernarg_segment_size: 440
    .language:       OpenCL C
    .language_version:
      - 2
      - 0
    .max_flat_workgroup_size: 1024
    .name:           _ZN2at6native31max_unpooling3d_backward_kernelIhEEvPKT_lllN5torch10headeronly6detail27GenericPackedTensorAccessorINS7_14TensorAccessorIN3c108ArrayRefIlEElLm3ENS6_16DefaultPtrTraitsElEENS_6detail16IndexBoundsCheckILm4ElEElLm4ESD_lEENS8_INS9_ISC_S2_Lm3ESD_lEESH_S2_Lm4ESD_lEEi
    .private_segment_fixed_size: 0
    .sgpr_count:     27
    .sgpr_spill_count: 0
    .symbol:         _ZN2at6native31max_unpooling3d_backward_kernelIhEEvPKT_lllN5torch10headeronly6detail27GenericPackedTensorAccessorINS7_14TensorAccessorIN3c108ArrayRefIlEElLm3ENS6_16DefaultPtrTraitsElEENS_6detail16IndexBoundsCheckILm4ElEElLm4ESD_lEENS8_INS9_ISC_S2_Lm3ESD_lEESH_S2_Lm4ESD_lEEi.kd
    .uniform_work_group_size: 1
    .uses_dynamic_stack: false
    .vgpr_count:     8
    .vgpr_spill_count: 0
    .wavefront_size: 32
  - .args:
      - .address_space:  global
        .offset:         0
        .size:           8
        .value_kind:     global_buffer
      - .offset:         8
        .size:           8
        .value_kind:     by_value
      - .offset:         16
        .size:           8
        .value_kind:     by_value
      - .offset:         24
        .size:           8
        .value_kind:     by_value
      - .offset:         32
        .size:           72
        .value_kind:     by_value
      - .offset:         104
        .size:           72
        .value_kind:     by_value
      - .offset:         176
        .size:           4
        .value_kind:     by_value
      - .offset:         184
        .size:           4
        .value_kind:     hidden_block_count_x
      - .offset:         188
        .size:           4
        .value_kind:     hidden_block_count_y
      - .offset:         192
        .size:           4
        .value_kind:     hidden_block_count_z
      - .offset:         196
        .size:           2
        .value_kind:     hidden_group_size_x
      - .offset:         198
        .size:           2
        .value_kind:     hidden_group_size_y
      - .offset:         200
        .size:           2
        .value_kind:     hidden_group_size_z
      - .offset:         202
        .size:           2
        .value_kind:     hidden_remainder_x
      - .offset:         204
        .size:           2
        .value_kind:     hidden_remainder_y
      - .offset:         206
        .size:           2
        .value_kind:     hidden_remainder_z
      - .offset:         224
        .size:           8
        .value_kind:     hidden_global_offset_x
      - .offset:         232
        .size:           8
        .value_kind:     hidden_global_offset_y
      - .offset:         240
        .size:           8
        .value_kind:     hidden_global_offset_z
      - .offset:         248
        .size:           2
        .value_kind:     hidden_grid_dims
    .group_segment_fixed_size: 0
    .kernarg_segment_align: 8
    .kernarg_segment_size: 440
    .language:       OpenCL C
    .language_version:
      - 2
      - 0
    .max_flat_workgroup_size: 1024
    .name:           _ZN2at6native31max_unpooling3d_backward_kernelIaEEvPKT_lllN5torch10headeronly6detail27GenericPackedTensorAccessorINS7_14TensorAccessorIN3c108ArrayRefIlEElLm3ENS6_16DefaultPtrTraitsElEENS_6detail16IndexBoundsCheckILm4ElEElLm4ESD_lEENS8_INS9_ISC_S2_Lm3ESD_lEESH_S2_Lm4ESD_lEEi
    .private_segment_fixed_size: 0
    .sgpr_count:     27
    .sgpr_spill_count: 0
    .symbol:         _ZN2at6native31max_unpooling3d_backward_kernelIaEEvPKT_lllN5torch10headeronly6detail27GenericPackedTensorAccessorINS7_14TensorAccessorIN3c108ArrayRefIlEElLm3ENS6_16DefaultPtrTraitsElEENS_6detail16IndexBoundsCheckILm4ElEElLm4ESD_lEENS8_INS9_ISC_S2_Lm3ESD_lEESH_S2_Lm4ESD_lEEi.kd
    .uniform_work_group_size: 1
    .uses_dynamic_stack: false
    .vgpr_count:     8
    .vgpr_spill_count: 0
    .wavefront_size: 32
  - .args:
      - .address_space:  global
        .offset:         0
        .size:           8
        .value_kind:     global_buffer
      - .offset:         8
        .size:           8
        .value_kind:     by_value
      - .offset:         16
        .size:           8
        .value_kind:     by_value
      - .offset:         24
        .size:           8
        .value_kind:     by_value
      - .offset:         32
        .size:           72
        .value_kind:     by_value
      - .offset:         104
        .size:           72
        .value_kind:     by_value
      - .offset:         176
        .size:           4
        .value_kind:     by_value
      - .offset:         184
        .size:           4
        .value_kind:     hidden_block_count_x
      - .offset:         188
        .size:           4
        .value_kind:     hidden_block_count_y
      - .offset:         192
        .size:           4
        .value_kind:     hidden_block_count_z
      - .offset:         196
        .size:           2
        .value_kind:     hidden_group_size_x
      - .offset:         198
        .size:           2
        .value_kind:     hidden_group_size_y
      - .offset:         200
        .size:           2
        .value_kind:     hidden_group_size_z
      - .offset:         202
        .size:           2
        .value_kind:     hidden_remainder_x
      - .offset:         204
        .size:           2
        .value_kind:     hidden_remainder_y
      - .offset:         206
        .size:           2
        .value_kind:     hidden_remainder_z
      - .offset:         224
        .size:           8
        .value_kind:     hidden_global_offset_x
      - .offset:         232
        .size:           8
        .value_kind:     hidden_global_offset_y
      - .offset:         240
        .size:           8
        .value_kind:     hidden_global_offset_z
      - .offset:         248
        .size:           2
        .value_kind:     hidden_grid_dims
    .group_segment_fixed_size: 0
    .kernarg_segment_align: 8
    .kernarg_segment_size: 440
    .language:       OpenCL C
    .language_version:
      - 2
      - 0
    .max_flat_workgroup_size: 1024
    .name:           _ZN2at6native31max_unpooling3d_backward_kernelIiEEvPKT_lllN5torch10headeronly6detail27GenericPackedTensorAccessorINS7_14TensorAccessorIN3c108ArrayRefIlEElLm3ENS6_16DefaultPtrTraitsElEENS_6detail16IndexBoundsCheckILm4ElEElLm4ESD_lEENS8_INS9_ISC_S2_Lm3ESD_lEESH_S2_Lm4ESD_lEEi
    .private_segment_fixed_size: 0
    .sgpr_count:     27
    .sgpr_spill_count: 0
    .symbol:         _ZN2at6native31max_unpooling3d_backward_kernelIiEEvPKT_lllN5torch10headeronly6detail27GenericPackedTensorAccessorINS7_14TensorAccessorIN3c108ArrayRefIlEElLm3ENS6_16DefaultPtrTraitsElEENS_6detail16IndexBoundsCheckILm4ElEElLm4ESD_lEENS8_INS9_ISC_S2_Lm3ESD_lEESH_S2_Lm4ESD_lEEi.kd
    .uniform_work_group_size: 1
    .uses_dynamic_stack: false
    .vgpr_count:     8
    .vgpr_spill_count: 0
    .wavefront_size: 32
  - .args:
      - .address_space:  global
        .offset:         0
        .size:           8
        .value_kind:     global_buffer
      - .offset:         8
        .size:           8
        .value_kind:     by_value
      - .offset:         16
        .size:           8
        .value_kind:     by_value
      - .offset:         24
        .size:           8
        .value_kind:     by_value
      - .offset:         32
        .size:           72
        .value_kind:     by_value
      - .offset:         104
        .size:           72
        .value_kind:     by_value
      - .offset:         176
        .size:           4
        .value_kind:     by_value
      - .offset:         184
        .size:           4
        .value_kind:     hidden_block_count_x
      - .offset:         188
        .size:           4
        .value_kind:     hidden_block_count_y
      - .offset:         192
        .size:           4
        .value_kind:     hidden_block_count_z
      - .offset:         196
        .size:           2
        .value_kind:     hidden_group_size_x
      - .offset:         198
        .size:           2
        .value_kind:     hidden_group_size_y
      - .offset:         200
        .size:           2
        .value_kind:     hidden_group_size_z
      - .offset:         202
        .size:           2
        .value_kind:     hidden_remainder_x
      - .offset:         204
        .size:           2
        .value_kind:     hidden_remainder_y
      - .offset:         206
        .size:           2
        .value_kind:     hidden_remainder_z
      - .offset:         224
        .size:           8
        .value_kind:     hidden_global_offset_x
      - .offset:         232
        .size:           8
        .value_kind:     hidden_global_offset_y
      - .offset:         240
        .size:           8
        .value_kind:     hidden_global_offset_z
      - .offset:         248
        .size:           2
        .value_kind:     hidden_grid_dims
    .group_segment_fixed_size: 0
    .kernarg_segment_align: 8
    .kernarg_segment_size: 440
    .language:       OpenCL C
    .language_version:
      - 2
      - 0
    .max_flat_workgroup_size: 1024
    .name:           _ZN2at6native31max_unpooling3d_backward_kernelIlEEvPKT_lllN5torch10headeronly6detail27GenericPackedTensorAccessorINS7_14TensorAccessorIN3c108ArrayRefIlEElLm3ENS6_16DefaultPtrTraitsElEENS_6detail16IndexBoundsCheckILm4ElEElLm4ESD_lEENS8_INS9_ISC_S2_Lm3ESD_lEESH_S2_Lm4ESD_lEEi
    .private_segment_fixed_size: 0
    .sgpr_count:     27
    .sgpr_spill_count: 0
    .symbol:         _ZN2at6native31max_unpooling3d_backward_kernelIlEEvPKT_lllN5torch10headeronly6detail27GenericPackedTensorAccessorINS7_14TensorAccessorIN3c108ArrayRefIlEElLm3ENS6_16DefaultPtrTraitsElEENS_6detail16IndexBoundsCheckILm4ElEElLm4ESD_lEENS8_INS9_ISC_S2_Lm3ESD_lEESH_S2_Lm4ESD_lEEi.kd
    .uniform_work_group_size: 1
    .uses_dynamic_stack: false
    .vgpr_count:     8
    .vgpr_spill_count: 0
    .wavefront_size: 32
  - .args:
      - .address_space:  global
        .offset:         0
        .size:           8
        .value_kind:     global_buffer
      - .offset:         8
        .size:           8
        .value_kind:     by_value
      - .offset:         16
        .size:           8
        .value_kind:     by_value
      - .offset:         24
        .size:           8
        .value_kind:     by_value
      - .offset:         32
        .size:           72
        .value_kind:     by_value
      - .offset:         104
        .size:           72
        .value_kind:     by_value
      - .offset:         176
        .size:           4
        .value_kind:     by_value
      - .offset:         184
        .size:           4
        .value_kind:     hidden_block_count_x
      - .offset:         188
        .size:           4
        .value_kind:     hidden_block_count_y
      - .offset:         192
        .size:           4
        .value_kind:     hidden_block_count_z
      - .offset:         196
        .size:           2
        .value_kind:     hidden_group_size_x
      - .offset:         198
        .size:           2
        .value_kind:     hidden_group_size_y
      - .offset:         200
        .size:           2
        .value_kind:     hidden_group_size_z
      - .offset:         202
        .size:           2
        .value_kind:     hidden_remainder_x
      - .offset:         204
        .size:           2
        .value_kind:     hidden_remainder_y
      - .offset:         206
        .size:           2
        .value_kind:     hidden_remainder_z
      - .offset:         224
        .size:           8
        .value_kind:     hidden_global_offset_x
      - .offset:         232
        .size:           8
        .value_kind:     hidden_global_offset_y
      - .offset:         240
        .size:           8
        .value_kind:     hidden_global_offset_z
      - .offset:         248
        .size:           2
        .value_kind:     hidden_grid_dims
    .group_segment_fixed_size: 0
    .kernarg_segment_align: 8
    .kernarg_segment_size: 440
    .language:       OpenCL C
    .language_version:
      - 2
      - 0
    .max_flat_workgroup_size: 1024
    .name:           _ZN2at6native31max_unpooling3d_backward_kernelIsEEvPKT_lllN5torch10headeronly6detail27GenericPackedTensorAccessorINS7_14TensorAccessorIN3c108ArrayRefIlEElLm3ENS6_16DefaultPtrTraitsElEENS_6detail16IndexBoundsCheckILm4ElEElLm4ESD_lEENS8_INS9_ISC_S2_Lm3ESD_lEESH_S2_Lm4ESD_lEEi
    .private_segment_fixed_size: 0
    .sgpr_count:     27
    .sgpr_spill_count: 0
    .symbol:         _ZN2at6native31max_unpooling3d_backward_kernelIsEEvPKT_lllN5torch10headeronly6detail27GenericPackedTensorAccessorINS7_14TensorAccessorIN3c108ArrayRefIlEElLm3ENS6_16DefaultPtrTraitsElEENS_6detail16IndexBoundsCheckILm4ElEElLm4ESD_lEENS8_INS9_ISC_S2_Lm3ESD_lEESH_S2_Lm4ESD_lEEi.kd
    .uniform_work_group_size: 1
    .uses_dynamic_stack: false
    .vgpr_count:     8
    .vgpr_spill_count: 0
    .wavefront_size: 32
  - .args:
      - .address_space:  global
        .offset:         0
        .size:           8
        .value_kind:     global_buffer
      - .offset:         8
        .size:           8
        .value_kind:     by_value
      - .offset:         16
        .size:           8
        .value_kind:     by_value
      - .offset:         24
        .size:           8
        .value_kind:     by_value
      - .offset:         32
        .size:           72
        .value_kind:     by_value
      - .offset:         104
        .size:           72
        .value_kind:     by_value
      - .offset:         176
        .size:           4
        .value_kind:     by_value
      - .offset:         184
        .size:           4
        .value_kind:     hidden_block_count_x
      - .offset:         188
        .size:           4
        .value_kind:     hidden_block_count_y
      - .offset:         192
        .size:           4
        .value_kind:     hidden_block_count_z
      - .offset:         196
        .size:           2
        .value_kind:     hidden_group_size_x
      - .offset:         198
        .size:           2
        .value_kind:     hidden_group_size_y
      - .offset:         200
        .size:           2
        .value_kind:     hidden_group_size_z
      - .offset:         202
        .size:           2
        .value_kind:     hidden_remainder_x
      - .offset:         204
        .size:           2
        .value_kind:     hidden_remainder_y
      - .offset:         206
        .size:           2
        .value_kind:     hidden_remainder_z
      - .offset:         224
        .size:           8
        .value_kind:     hidden_global_offset_x
      - .offset:         232
        .size:           8
        .value_kind:     hidden_global_offset_y
      - .offset:         240
        .size:           8
        .value_kind:     hidden_global_offset_z
      - .offset:         248
        .size:           2
        .value_kind:     hidden_grid_dims
    .group_segment_fixed_size: 0
    .kernarg_segment_align: 8
    .kernarg_segment_size: 440
    .language:       OpenCL C
    .language_version:
      - 2
      - 0
    .max_flat_workgroup_size: 1024
    .name:           _ZN2at6native31max_unpooling3d_backward_kernelIdEEvPKT_lllN5torch10headeronly6detail27GenericPackedTensorAccessorINS7_14TensorAccessorIN3c108ArrayRefIlEElLm3ENS6_16DefaultPtrTraitsElEENS_6detail16IndexBoundsCheckILm4ElEElLm4ESD_lEENS8_INS9_ISC_S2_Lm3ESD_lEESH_S2_Lm4ESD_lEEi
    .private_segment_fixed_size: 0
    .sgpr_count:     27
    .sgpr_spill_count: 0
    .symbol:         _ZN2at6native31max_unpooling3d_backward_kernelIdEEvPKT_lllN5torch10headeronly6detail27GenericPackedTensorAccessorINS7_14TensorAccessorIN3c108ArrayRefIlEElLm3ENS6_16DefaultPtrTraitsElEENS_6detail16IndexBoundsCheckILm4ElEElLm4ESD_lEENS8_INS9_ISC_S2_Lm3ESD_lEESH_S2_Lm4ESD_lEEi.kd
    .uniform_work_group_size: 1
    .uses_dynamic_stack: false
    .vgpr_count:     8
    .vgpr_spill_count: 0
    .wavefront_size: 32
  - .args:
      - .address_space:  global
        .offset:         0
        .size:           8
        .value_kind:     global_buffer
      - .offset:         8
        .size:           8
        .value_kind:     by_value
      - .offset:         16
        .size:           8
        .value_kind:     by_value
      - .offset:         24
        .size:           8
        .value_kind:     by_value
      - .offset:         32
        .size:           72
        .value_kind:     by_value
      - .offset:         104
        .size:           72
        .value_kind:     by_value
      - .offset:         176
        .size:           4
        .value_kind:     by_value
      - .offset:         184
        .size:           4
        .value_kind:     hidden_block_count_x
      - .offset:         188
        .size:           4
        .value_kind:     hidden_block_count_y
      - .offset:         192
        .size:           4
        .value_kind:     hidden_block_count_z
      - .offset:         196
        .size:           2
        .value_kind:     hidden_group_size_x
      - .offset:         198
        .size:           2
        .value_kind:     hidden_group_size_y
      - .offset:         200
        .size:           2
        .value_kind:     hidden_group_size_z
      - .offset:         202
        .size:           2
        .value_kind:     hidden_remainder_x
      - .offset:         204
        .size:           2
        .value_kind:     hidden_remainder_y
      - .offset:         206
        .size:           2
        .value_kind:     hidden_remainder_z
      - .offset:         224
        .size:           8
        .value_kind:     hidden_global_offset_x
      - .offset:         232
        .size:           8
        .value_kind:     hidden_global_offset_y
      - .offset:         240
        .size:           8
        .value_kind:     hidden_global_offset_z
      - .offset:         248
        .size:           2
        .value_kind:     hidden_grid_dims
    .group_segment_fixed_size: 0
    .kernarg_segment_align: 8
    .kernarg_segment_size: 440
    .language:       OpenCL C
    .language_version:
      - 2
      - 0
    .max_flat_workgroup_size: 1024
    .name:           _ZN2at6native31max_unpooling3d_backward_kernelIfEEvPKT_lllN5torch10headeronly6detail27GenericPackedTensorAccessorINS7_14TensorAccessorIN3c108ArrayRefIlEElLm3ENS6_16DefaultPtrTraitsElEENS_6detail16IndexBoundsCheckILm4ElEElLm4ESD_lEENS8_INS9_ISC_S2_Lm3ESD_lEESH_S2_Lm4ESD_lEEi
    .private_segment_fixed_size: 0
    .sgpr_count:     27
    .sgpr_spill_count: 0
    .symbol:         _ZN2at6native31max_unpooling3d_backward_kernelIfEEvPKT_lllN5torch10headeronly6detail27GenericPackedTensorAccessorINS7_14TensorAccessorIN3c108ArrayRefIlEElLm3ENS6_16DefaultPtrTraitsElEENS_6detail16IndexBoundsCheckILm4ElEElLm4ESD_lEENS8_INS9_ISC_S2_Lm3ESD_lEESH_S2_Lm4ESD_lEEi.kd
    .uniform_work_group_size: 1
    .uses_dynamic_stack: false
    .vgpr_count:     8
    .vgpr_spill_count: 0
    .wavefront_size: 32
  - .args:
      - .address_space:  global
        .offset:         0
        .size:           8
        .value_kind:     global_buffer
      - .offset:         8
        .size:           8
        .value_kind:     by_value
      - .offset:         16
        .size:           8
        .value_kind:     by_value
      - .offset:         24
        .size:           8
        .value_kind:     by_value
      - .offset:         32
        .size:           72
        .value_kind:     by_value
      - .offset:         104
        .size:           72
        .value_kind:     by_value
      - .offset:         176
        .size:           4
        .value_kind:     by_value
      - .offset:         184
        .size:           4
        .value_kind:     hidden_block_count_x
      - .offset:         188
        .size:           4
        .value_kind:     hidden_block_count_y
      - .offset:         192
        .size:           4
        .value_kind:     hidden_block_count_z
      - .offset:         196
        .size:           2
        .value_kind:     hidden_group_size_x
      - .offset:         198
        .size:           2
        .value_kind:     hidden_group_size_y
      - .offset:         200
        .size:           2
        .value_kind:     hidden_group_size_z
      - .offset:         202
        .size:           2
        .value_kind:     hidden_remainder_x
      - .offset:         204
        .size:           2
        .value_kind:     hidden_remainder_y
      - .offset:         206
        .size:           2
        .value_kind:     hidden_remainder_z
      - .offset:         224
        .size:           8
        .value_kind:     hidden_global_offset_x
      - .offset:         232
        .size:           8
        .value_kind:     hidden_global_offset_y
      - .offset:         240
        .size:           8
        .value_kind:     hidden_global_offset_z
      - .offset:         248
        .size:           2
        .value_kind:     hidden_grid_dims
    .group_segment_fixed_size: 0
    .kernarg_segment_align: 8
    .kernarg_segment_size: 440
    .language:       OpenCL C
    .language_version:
      - 2
      - 0
    .max_flat_workgroup_size: 1024
    .name:           _ZN2at6native31max_unpooling3d_backward_kernelIN3c104HalfEEEvPKT_lllN5torch10headeronly6detail27GenericPackedTensorAccessorINS9_14TensorAccessorINS2_8ArrayRefIlEElLm3ENS8_16DefaultPtrTraitsElEENS_6detail16IndexBoundsCheckILm4ElEElLm4ESE_lEENSA_INSB_ISD_S4_Lm3ESE_lEESI_S4_Lm4ESE_lEEi
    .private_segment_fixed_size: 0
    .sgpr_count:     27
    .sgpr_spill_count: 0
    .symbol:         _ZN2at6native31max_unpooling3d_backward_kernelIN3c104HalfEEEvPKT_lllN5torch10headeronly6detail27GenericPackedTensorAccessorINS9_14TensorAccessorINS2_8ArrayRefIlEElLm3ENS8_16DefaultPtrTraitsElEENS_6detail16IndexBoundsCheckILm4ElEElLm4ESE_lEENSA_INSB_ISD_S4_Lm3ESE_lEESI_S4_Lm4ESE_lEEi.kd
    .uniform_work_group_size: 1
    .uses_dynamic_stack: false
    .vgpr_count:     8
    .vgpr_spill_count: 0
    .wavefront_size: 32
  - .args:
      - .address_space:  global
        .offset:         0
        .size:           8
        .value_kind:     global_buffer
      - .offset:         8
        .size:           8
        .value_kind:     by_value
      - .offset:         16
        .size:           8
        .value_kind:     by_value
      - .offset:         24
        .size:           8
        .value_kind:     by_value
      - .offset:         32
        .size:           72
        .value_kind:     by_value
      - .offset:         104
        .size:           72
        .value_kind:     by_value
      - .offset:         176
        .size:           4
        .value_kind:     by_value
      - .offset:         184
        .size:           4
        .value_kind:     hidden_block_count_x
      - .offset:         188
        .size:           4
        .value_kind:     hidden_block_count_y
      - .offset:         192
        .size:           4
        .value_kind:     hidden_block_count_z
      - .offset:         196
        .size:           2
        .value_kind:     hidden_group_size_x
      - .offset:         198
        .size:           2
        .value_kind:     hidden_group_size_y
      - .offset:         200
        .size:           2
        .value_kind:     hidden_group_size_z
      - .offset:         202
        .size:           2
        .value_kind:     hidden_remainder_x
      - .offset:         204
        .size:           2
        .value_kind:     hidden_remainder_y
      - .offset:         206
        .size:           2
        .value_kind:     hidden_remainder_z
      - .offset:         224
        .size:           8
        .value_kind:     hidden_global_offset_x
      - .offset:         232
        .size:           8
        .value_kind:     hidden_global_offset_y
      - .offset:         240
        .size:           8
        .value_kind:     hidden_global_offset_z
      - .offset:         248
        .size:           2
        .value_kind:     hidden_grid_dims
    .group_segment_fixed_size: 0
    .kernarg_segment_align: 8
    .kernarg_segment_size: 440
    .language:       OpenCL C
    .language_version:
      - 2
      - 0
    .max_flat_workgroup_size: 1024
    .name:           _ZN2at6native31max_unpooling3d_backward_kernelIN3c108BFloat16EEEvPKT_lllN5torch10headeronly6detail27GenericPackedTensorAccessorINS9_14TensorAccessorINS2_8ArrayRefIlEElLm3ENS8_16DefaultPtrTraitsElEENS_6detail16IndexBoundsCheckILm4ElEElLm4ESE_lEENSA_INSB_ISD_S4_Lm3ESE_lEESI_S4_Lm4ESE_lEEi
    .private_segment_fixed_size: 0
    .sgpr_count:     27
    .sgpr_spill_count: 0
    .symbol:         _ZN2at6native31max_unpooling3d_backward_kernelIN3c108BFloat16EEEvPKT_lllN5torch10headeronly6detail27GenericPackedTensorAccessorINS9_14TensorAccessorINS2_8ArrayRefIlEElLm3ENS8_16DefaultPtrTraitsElEENS_6detail16IndexBoundsCheckILm4ElEElLm4ESE_lEENSA_INSB_ISD_S4_Lm3ESE_lEESI_S4_Lm4ESE_lEEi.kd
    .uniform_work_group_size: 1
    .uses_dynamic_stack: false
    .vgpr_count:     8
    .vgpr_spill_count: 0
    .wavefront_size: 32
amdhsa.target:   amdgcn-amd-amdhsa--gfx1250
amdhsa.version:
  - 1
  - 2
...

	.end_amdgpu_metadata
